;; amdgpu-corpus repo=ROCm/rocFFT kind=compiled arch=gfx1201 opt=O3
	.text
	.amdgcn_target "amdgcn-amd-amdhsa--gfx1201"
	.amdhsa_code_object_version 6
	.protected	fft_rtc_back_len408_factors_17_3_8_wgs_51_tpt_17_halfLds_half_ip_CI_unitstride_sbrr_C2R_dirReg ; -- Begin function fft_rtc_back_len408_factors_17_3_8_wgs_51_tpt_17_halfLds_half_ip_CI_unitstride_sbrr_C2R_dirReg
	.globl	fft_rtc_back_len408_factors_17_3_8_wgs_51_tpt_17_halfLds_half_ip_CI_unitstride_sbrr_C2R_dirReg
	.p2align	8
	.type	fft_rtc_back_len408_factors_17_3_8_wgs_51_tpt_17_halfLds_half_ip_CI_unitstride_sbrr_C2R_dirReg,@function
fft_rtc_back_len408_factors_17_3_8_wgs_51_tpt_17_halfLds_half_ip_CI_unitstride_sbrr_C2R_dirReg: ; @fft_rtc_back_len408_factors_17_3_8_wgs_51_tpt_17_halfLds_half_ip_CI_unitstride_sbrr_C2R_dirReg
; %bb.0:
	s_load_b128 s[4:7], s[0:1], 0x0
	v_mul_u32_u24_e32 v1, 0xf10, v0
	s_clause 0x1
	s_load_b64 s[8:9], s[0:1], 0x50
	s_load_b64 s[10:11], s[0:1], 0x18
	v_mov_b32_e32 v5, 0
	v_lshrrev_b32_e32 v1, 16, v1
	s_delay_alu instid0(VALU_DEP_1) | instskip(SKIP_3) | instid1(VALU_DEP_1)
	v_mad_co_u64_u32 v[1:2], null, ttmp9, 3, v[1:2]
	v_mov_b32_e32 v3, 0
	v_mov_b32_e32 v4, 0
	;; [unrolled: 1-line block ×4, first 2 shown]
	s_wait_kmcnt 0x0
	v_cmp_lt_u64_e64 s2, s[6:7], 2
	v_mov_b32_e32 v9, v1
	s_delay_alu instid0(VALU_DEP_2)
	s_and_b32 vcc_lo, exec_lo, s2
	s_cbranch_vccnz .LBB0_8
; %bb.1:
	s_load_b64 s[2:3], s[0:1], 0x10
	v_dual_mov_b32 v3, 0 :: v_dual_mov_b32 v8, v2
	v_dual_mov_b32 v4, 0 :: v_dual_mov_b32 v7, v1
	s_add_nc_u64 s[12:13], s[10:11], 8
	s_mov_b64 s[14:15], 1
	s_wait_kmcnt 0x0
	s_add_nc_u64 s[16:17], s[2:3], 8
	s_mov_b32 s3, 0
.LBB0_2:                                ; =>This Inner Loop Header: Depth=1
	s_load_b64 s[18:19], s[16:17], 0x0
                                        ; implicit-def: $vgpr9_vgpr10
	s_mov_b32 s2, exec_lo
	s_wait_kmcnt 0x0
	v_or_b32_e32 v6, s19, v8
	s_delay_alu instid0(VALU_DEP_1)
	v_cmpx_ne_u64_e32 0, v[5:6]
	s_wait_alu 0xfffe
	s_xor_b32 s20, exec_lo, s2
	s_cbranch_execz .LBB0_4
; %bb.3:                                ;   in Loop: Header=BB0_2 Depth=1
	s_cvt_f32_u32 s2, s18
	s_cvt_f32_u32 s21, s19
	s_sub_nc_u64 s[24:25], 0, s[18:19]
	s_wait_alu 0xfffe
	s_delay_alu instid0(SALU_CYCLE_1) | instskip(SKIP_1) | instid1(SALU_CYCLE_2)
	s_fmamk_f32 s2, s21, 0x4f800000, s2
	s_wait_alu 0xfffe
	v_s_rcp_f32 s2, s2
	s_delay_alu instid0(TRANS32_DEP_1) | instskip(SKIP_1) | instid1(SALU_CYCLE_2)
	s_mul_f32 s2, s2, 0x5f7ffffc
	s_wait_alu 0xfffe
	s_mul_f32 s21, s2, 0x2f800000
	s_wait_alu 0xfffe
	s_delay_alu instid0(SALU_CYCLE_2) | instskip(SKIP_1) | instid1(SALU_CYCLE_2)
	s_trunc_f32 s21, s21
	s_wait_alu 0xfffe
	s_fmamk_f32 s2, s21, 0xcf800000, s2
	s_cvt_u32_f32 s23, s21
	s_wait_alu 0xfffe
	s_delay_alu instid0(SALU_CYCLE_1) | instskip(SKIP_1) | instid1(SALU_CYCLE_2)
	s_cvt_u32_f32 s22, s2
	s_wait_alu 0xfffe
	s_mul_u64 s[26:27], s[24:25], s[22:23]
	s_wait_alu 0xfffe
	s_mul_hi_u32 s29, s22, s27
	s_mul_i32 s28, s22, s27
	s_mul_hi_u32 s2, s22, s26
	s_mul_i32 s30, s23, s26
	s_wait_alu 0xfffe
	s_add_nc_u64 s[28:29], s[2:3], s[28:29]
	s_mul_hi_u32 s21, s23, s26
	s_mul_hi_u32 s31, s23, s27
	s_add_co_u32 s2, s28, s30
	s_wait_alu 0xfffe
	s_add_co_ci_u32 s2, s29, s21
	s_mul_i32 s26, s23, s27
	s_add_co_ci_u32 s27, s31, 0
	s_wait_alu 0xfffe
	s_add_nc_u64 s[26:27], s[2:3], s[26:27]
	s_wait_alu 0xfffe
	v_add_co_u32 v2, s2, s22, s26
	s_delay_alu instid0(VALU_DEP_1) | instskip(SKIP_1) | instid1(VALU_DEP_1)
	s_cmp_lg_u32 s2, 0
	s_add_co_ci_u32 s23, s23, s27
	v_readfirstlane_b32 s22, v2
	s_wait_alu 0xfffe
	s_delay_alu instid0(VALU_DEP_1)
	s_mul_u64 s[24:25], s[24:25], s[22:23]
	s_wait_alu 0xfffe
	s_mul_hi_u32 s27, s22, s25
	s_mul_i32 s26, s22, s25
	s_mul_hi_u32 s2, s22, s24
	s_mul_i32 s28, s23, s24
	s_wait_alu 0xfffe
	s_add_nc_u64 s[26:27], s[2:3], s[26:27]
	s_mul_hi_u32 s21, s23, s24
	s_mul_hi_u32 s22, s23, s25
	s_wait_alu 0xfffe
	s_add_co_u32 s2, s26, s28
	s_add_co_ci_u32 s2, s27, s21
	s_mul_i32 s24, s23, s25
	s_add_co_ci_u32 s25, s22, 0
	s_wait_alu 0xfffe
	s_add_nc_u64 s[24:25], s[2:3], s[24:25]
	s_wait_alu 0xfffe
	v_add_co_u32 v2, s2, v2, s24
	s_delay_alu instid0(VALU_DEP_1) | instskip(SKIP_1) | instid1(VALU_DEP_1)
	s_cmp_lg_u32 s2, 0
	s_add_co_ci_u32 s2, s23, s25
	v_mul_hi_u32 v6, v7, v2
	s_wait_alu 0xfffe
	v_mad_co_u64_u32 v[9:10], null, v7, s2, 0
	v_mad_co_u64_u32 v[11:12], null, v8, v2, 0
	;; [unrolled: 1-line block ×3, first 2 shown]
	s_delay_alu instid0(VALU_DEP_3) | instskip(SKIP_1) | instid1(VALU_DEP_4)
	v_add_co_u32 v2, vcc_lo, v6, v9
	s_wait_alu 0xfffd
	v_add_co_ci_u32_e32 v6, vcc_lo, 0, v10, vcc_lo
	s_delay_alu instid0(VALU_DEP_2) | instskip(SKIP_1) | instid1(VALU_DEP_2)
	v_add_co_u32 v2, vcc_lo, v2, v11
	s_wait_alu 0xfffd
	v_add_co_ci_u32_e32 v2, vcc_lo, v6, v12, vcc_lo
	s_wait_alu 0xfffd
	v_add_co_ci_u32_e32 v6, vcc_lo, 0, v14, vcc_lo
	s_delay_alu instid0(VALU_DEP_2) | instskip(SKIP_1) | instid1(VALU_DEP_2)
	v_add_co_u32 v2, vcc_lo, v2, v13
	s_wait_alu 0xfffd
	v_add_co_ci_u32_e32 v6, vcc_lo, 0, v6, vcc_lo
	s_delay_alu instid0(VALU_DEP_2) | instskip(SKIP_1) | instid1(VALU_DEP_3)
	v_mul_lo_u32 v11, s19, v2
	v_mad_co_u64_u32 v[9:10], null, s18, v2, 0
	v_mul_lo_u32 v12, s18, v6
	s_delay_alu instid0(VALU_DEP_2) | instskip(NEXT) | instid1(VALU_DEP_2)
	v_sub_co_u32 v9, vcc_lo, v7, v9
	v_add3_u32 v10, v10, v12, v11
	s_delay_alu instid0(VALU_DEP_1) | instskip(SKIP_1) | instid1(VALU_DEP_1)
	v_sub_nc_u32_e32 v11, v8, v10
	s_wait_alu 0xfffd
	v_subrev_co_ci_u32_e64 v11, s2, s19, v11, vcc_lo
	v_add_co_u32 v12, s2, v2, 2
	s_wait_alu 0xf1ff
	v_add_co_ci_u32_e64 v13, s2, 0, v6, s2
	v_sub_co_u32 v14, s2, v9, s18
	v_sub_co_ci_u32_e32 v10, vcc_lo, v8, v10, vcc_lo
	s_wait_alu 0xf1ff
	v_subrev_co_ci_u32_e64 v11, s2, 0, v11, s2
	s_delay_alu instid0(VALU_DEP_3) | instskip(NEXT) | instid1(VALU_DEP_3)
	v_cmp_le_u32_e32 vcc_lo, s18, v14
	v_cmp_eq_u32_e64 s2, s19, v10
	s_wait_alu 0xfffd
	v_cndmask_b32_e64 v14, 0, -1, vcc_lo
	v_cmp_le_u32_e32 vcc_lo, s19, v11
	s_wait_alu 0xfffd
	v_cndmask_b32_e64 v15, 0, -1, vcc_lo
	v_cmp_le_u32_e32 vcc_lo, s18, v9
	;; [unrolled: 3-line block ×3, first 2 shown]
	s_wait_alu 0xfffd
	v_cndmask_b32_e64 v16, 0, -1, vcc_lo
	v_cmp_eq_u32_e32 vcc_lo, s19, v11
	s_wait_alu 0xf1ff
	s_delay_alu instid0(VALU_DEP_2)
	v_cndmask_b32_e64 v9, v16, v9, s2
	s_wait_alu 0xfffd
	v_cndmask_b32_e32 v11, v15, v14, vcc_lo
	v_add_co_u32 v14, vcc_lo, v2, 1
	s_wait_alu 0xfffd
	v_add_co_ci_u32_e32 v15, vcc_lo, 0, v6, vcc_lo
	s_delay_alu instid0(VALU_DEP_3) | instskip(SKIP_1) | instid1(VALU_DEP_2)
	v_cmp_ne_u32_e32 vcc_lo, 0, v11
	s_wait_alu 0xfffd
	v_dual_cndmask_b32 v10, v15, v13 :: v_dual_cndmask_b32 v11, v14, v12
	v_cmp_ne_u32_e32 vcc_lo, 0, v9
	s_wait_alu 0xfffd
	s_delay_alu instid0(VALU_DEP_2) | instskip(NEXT) | instid1(VALU_DEP_3)
	v_cndmask_b32_e32 v10, v6, v10, vcc_lo
	v_cndmask_b32_e32 v9, v2, v11, vcc_lo
.LBB0_4:                                ;   in Loop: Header=BB0_2 Depth=1
	s_wait_alu 0xfffe
	s_and_not1_saveexec_b32 s2, s20
	s_cbranch_execz .LBB0_6
; %bb.5:                                ;   in Loop: Header=BB0_2 Depth=1
	v_cvt_f32_u32_e32 v2, s18
	s_sub_co_i32 s20, 0, s18
	s_delay_alu instid0(VALU_DEP_1) | instskip(NEXT) | instid1(TRANS32_DEP_1)
	v_rcp_iflag_f32_e32 v2, v2
	v_mul_f32_e32 v2, 0x4f7ffffe, v2
	s_delay_alu instid0(VALU_DEP_1) | instskip(SKIP_1) | instid1(VALU_DEP_1)
	v_cvt_u32_f32_e32 v2, v2
	s_wait_alu 0xfffe
	v_mul_lo_u32 v6, s20, v2
	s_delay_alu instid0(VALU_DEP_1) | instskip(NEXT) | instid1(VALU_DEP_1)
	v_mul_hi_u32 v6, v2, v6
	v_add_nc_u32_e32 v2, v2, v6
	s_delay_alu instid0(VALU_DEP_1) | instskip(NEXT) | instid1(VALU_DEP_1)
	v_mul_hi_u32 v2, v7, v2
	v_mul_lo_u32 v6, v2, s18
	v_add_nc_u32_e32 v9, 1, v2
	s_delay_alu instid0(VALU_DEP_2) | instskip(NEXT) | instid1(VALU_DEP_1)
	v_sub_nc_u32_e32 v6, v7, v6
	v_subrev_nc_u32_e32 v10, s18, v6
	v_cmp_le_u32_e32 vcc_lo, s18, v6
	s_wait_alu 0xfffd
	s_delay_alu instid0(VALU_DEP_2) | instskip(SKIP_2) | instid1(VALU_DEP_3)
	v_cndmask_b32_e32 v6, v6, v10, vcc_lo
	v_mov_b32_e32 v10, v5
	v_cndmask_b32_e32 v2, v2, v9, vcc_lo
	v_cmp_le_u32_e32 vcc_lo, s18, v6
	s_delay_alu instid0(VALU_DEP_2) | instskip(SKIP_1) | instid1(VALU_DEP_1)
	v_add_nc_u32_e32 v9, 1, v2
	s_wait_alu 0xfffd
	v_cndmask_b32_e32 v9, v2, v9, vcc_lo
.LBB0_6:                                ;   in Loop: Header=BB0_2 Depth=1
	s_wait_alu 0xfffe
	s_or_b32 exec_lo, exec_lo, s2
	s_load_b64 s[20:21], s[12:13], 0x0
	v_mul_lo_u32 v2, v10, s18
	v_mul_lo_u32 v6, v9, s19
	v_mad_co_u64_u32 v[11:12], null, v9, s18, 0
	s_add_nc_u64 s[14:15], s[14:15], 1
	s_add_nc_u64 s[12:13], s[12:13], 8
	s_wait_alu 0xfffe
	v_cmp_ge_u64_e64 s2, s[14:15], s[6:7]
	s_add_nc_u64 s[16:17], s[16:17], 8
	s_delay_alu instid0(VALU_DEP_2) | instskip(NEXT) | instid1(VALU_DEP_3)
	v_add3_u32 v2, v12, v6, v2
	v_sub_co_u32 v6, vcc_lo, v7, v11
	s_wait_alu 0xfffd
	s_delay_alu instid0(VALU_DEP_2) | instskip(SKIP_3) | instid1(VALU_DEP_2)
	v_sub_co_ci_u32_e32 v2, vcc_lo, v8, v2, vcc_lo
	s_and_b32 vcc_lo, exec_lo, s2
	s_wait_kmcnt 0x0
	v_mul_lo_u32 v7, s21, v6
	v_mul_lo_u32 v2, s20, v2
	v_mad_co_u64_u32 v[3:4], null, s20, v6, v[3:4]
	s_delay_alu instid0(VALU_DEP_1)
	v_add3_u32 v4, v7, v4, v2
	s_wait_alu 0xfffe
	s_cbranch_vccnz .LBB0_8
; %bb.7:                                ;   in Loop: Header=BB0_2 Depth=1
	v_dual_mov_b32 v7, v9 :: v_dual_mov_b32 v8, v10
	s_branch .LBB0_2
.LBB0_8:
	s_lshl_b64 s[2:3], s[6:7], 3
	v_mul_hi_u32 v2, 0xaaaaaaab, v1
	s_wait_alu 0xfffe
	s_add_nc_u64 s[2:3], s[10:11], s[2:3]
	s_load_b64 s[0:1], s[0:1], 0x20
	s_load_b64 s[2:3], s[2:3], 0x0
	v_mul_hi_u32 v5, 0xf0f0f10, v0
	s_delay_alu instid0(VALU_DEP_2) | instskip(NEXT) | instid1(VALU_DEP_1)
	v_lshrrev_b32_e32 v2, 1, v2
	v_lshl_add_u32 v6, v2, 1, v2
	s_delay_alu instid0(VALU_DEP_1)
	v_sub_nc_u32_e32 v1, v1, v6
	s_wait_kmcnt 0x0
	v_cmp_gt_u64_e32 vcc_lo, s[0:1], v[9:10]
	v_mul_lo_u32 v7, s2, v10
	v_mul_lo_u32 v8, s3, v9
	v_mad_co_u64_u32 v[2:3], null, s2, v9, v[3:4]
	v_mul_u32_u24_e32 v4, 17, v5
	v_mul_u32_u24_e32 v6, 0x199, v1
	s_delay_alu instid0(VALU_DEP_2) | instskip(NEXT) | instid1(VALU_DEP_4)
	v_sub_nc_u32_e32 v0, v0, v4
	v_add3_u32 v3, v8, v3, v7
	s_delay_alu instid0(VALU_DEP_3) | instskip(NEXT) | instid1(VALU_DEP_2)
	v_lshlrev_b32_e32 v38, 2, v6
	v_lshlrev_b64_e32 v[2:3], 2, v[2:3]
	s_and_saveexec_b32 s1, vcc_lo
	s_cbranch_execz .LBB0_12
; %bb.9:
	v_mov_b32_e32 v1, 0
	s_delay_alu instid0(VALU_DEP_2) | instskip(SKIP_2) | instid1(VALU_DEP_3)
	v_add_co_u32 v4, s0, s8, v2
	s_wait_alu 0xf1ff
	v_add_co_ci_u32_e64 v5, s0, s9, v3, s0
	v_lshlrev_b64_e32 v[7:8], 2, v[0:1]
	v_lshlrev_b32_e32 v1, 2, v0
	s_mov_b32 s2, exec_lo
	s_delay_alu instid0(VALU_DEP_1) | instskip(NEXT) | instid1(VALU_DEP_3)
	v_add3_u32 v1, 0, v38, v1
	v_add_co_u32 v7, s0, v4, v7
	s_wait_alu 0xf1ff
	v_add_co_ci_u32_e64 v8, s0, v5, v8, s0
	s_clause 0x17
	global_load_b32 v9, v[7:8], off
	global_load_b32 v10, v[7:8], off offset:68
	global_load_b32 v11, v[7:8], off offset:136
	;; [unrolled: 1-line block ×23, first 2 shown]
	v_add_nc_u32_e32 v8, 0x400, v1
	s_wait_loadcnt 0x16
	ds_store_2addr_b32 v1, v9, v10 offset1:17
	s_wait_loadcnt 0x14
	ds_store_2addr_b32 v1, v11, v12 offset0:34 offset1:51
	s_wait_loadcnt 0x12
	ds_store_2addr_b32 v1, v13, v14 offset0:68 offset1:85
	;; [unrolled: 2-line block ×11, first 2 shown]
	v_cmpx_eq_u32_e32 16, v0
	s_cbranch_execz .LBB0_11
; %bb.10:
	global_load_b32 v4, v[4:5], off offset:1632
	v_mov_b32_e32 v0, 16
	s_wait_loadcnt 0x0
	ds_store_b32 v1, v4 offset:1568
.LBB0_11:
	s_wait_alu 0xfffe
	s_or_b32 exec_lo, exec_lo, s2
.LBB0_12:
	s_wait_alu 0xfffe
	s_or_b32 exec_lo, exec_lo, s1
	v_lshl_add_u32 v36, v6, 2, 0
	v_lshlrev_b32_e32 v1, 2, v0
	global_wb scope:SCOPE_SE
	s_wait_dscnt 0x0
	s_barrier_signal -1
	s_barrier_wait -1
	global_inv scope:SCOPE_SE
	v_add_nc_u32_e32 v37, v36, v1
	v_sub_nc_u32_e32 v6, v36, v1
	s_mov_b32 s1, exec_lo
                                        ; implicit-def: $vgpr4_vgpr5
	ds_load_u16 v9, v37
	ds_load_u16 v10, v6 offset:1632
	s_wait_dscnt 0x0
	v_add_f16_e32 v8, v10, v9
	v_sub_f16_e32 v7, v9, v10
	v_cmpx_ne_u32_e32 0, v0
	s_wait_alu 0xfffe
	s_xor_b32 s1, exec_lo, s1
	s_cbranch_execz .LBB0_14
; %bb.13:
	v_mov_b32_e32 v1, 0
	v_add_f16_e32 v8, v10, v9
	v_sub_f16_e32 v9, v9, v10
	s_delay_alu instid0(VALU_DEP_3) | instskip(NEXT) | instid1(VALU_DEP_1)
	v_lshlrev_b64_e32 v[4:5], 2, v[0:1]
	v_add_co_u32 v4, s0, s4, v4
	s_wait_alu 0xf1ff
	s_delay_alu instid0(VALU_DEP_2)
	v_add_co_ci_u32_e64 v5, s0, s5, v5, s0
	global_load_b32 v4, v[4:5], off offset:1564
	ds_load_u16 v5, v6 offset:1634
	ds_load_u16 v7, v37 offset:2
	s_wait_dscnt 0x0
	v_add_f16_e32 v10, v5, v7
	v_sub_f16_e32 v5, v7, v5
	s_wait_loadcnt 0x0
	v_lshrrev_b32_e32 v11, 16, v4
	s_delay_alu instid0(VALU_DEP_1) | instskip(NEXT) | instid1(VALU_DEP_3)
	v_fma_f16 v12, -v9, v11, v8
	v_fma_f16 v13, v10, v11, -v5
	v_fma_f16 v7, v10, v11, v5
	v_fma_f16 v8, v9, v11, v8
	s_delay_alu instid0(VALU_DEP_4) | instskip(NEXT) | instid1(VALU_DEP_4)
	v_fmac_f16_e32 v12, v4, v10
	v_fmac_f16_e32 v13, v9, v4
	s_delay_alu instid0(VALU_DEP_4) | instskip(NEXT) | instid1(VALU_DEP_4)
	v_fmac_f16_e32 v7, v9, v4
	v_fma_f16 v8, -v4, v10, v8
	v_dual_mov_b32 v5, v1 :: v_dual_mov_b32 v4, v0
	s_delay_alu instid0(VALU_DEP_4)
	v_pack_b32_f16 v9, v12, v13
	ds_store_b32 v6, v9 offset:1632
.LBB0_14:
	s_wait_alu 0xfffe
	s_and_not1_saveexec_b32 s0, s1
	s_cbranch_execz .LBB0_16
; %bb.15:
	ds_load_b32 v1, v36 offset:816
	v_mov_b32_e32 v4, 0
	v_mov_b32_e32 v5, 0
	s_wait_dscnt 0x0
	v_pk_mul_f16 v1, 0xc0004000, v1
	ds_store_b32 v36, v1 offset:816
.LBB0_16:
	s_wait_alu 0xfffe
	s_or_b32 exec_lo, exec_lo, s0
	v_lshlrev_b64_e32 v[4:5], 2, v[4:5]
	s_add_nc_u64 s[0:1], s[4:5], 0x61c
	v_perm_b32 v7, v7, v8, 0x5040100
	s_wait_alu 0xfffe
	s_delay_alu instid0(VALU_DEP_2)
	v_add_co_u32 v4, s0, s0, v4
	s_wait_alu 0xf1ff
	v_add_co_ci_u32_e64 v5, s0, s1, v5, s0
	s_mov_b32 s1, exec_lo
	s_clause 0x5
	global_load_b32 v1, v[4:5], off offset:68
	global_load_b32 v9, v[4:5], off offset:136
	;; [unrolled: 1-line block ×6, first 2 shown]
	ds_store_b32 v37, v7
	global_load_b32 v7, v[4:5], off offset:476
	ds_load_b32 v8, v37 offset:68
	ds_load_b32 v14, v6 offset:1564
	global_load_b32 v17, v[4:5], off offset:544
	s_wait_dscnt 0x1
	v_lshrrev_b32_e32 v15, 16, v8
	s_wait_dscnt 0x0
	v_lshrrev_b32_e32 v16, 16, v14
	v_add_f16_e32 v18, v8, v14
	v_sub_f16_e32 v8, v8, v14
	s_delay_alu instid0(VALU_DEP_3) | instskip(SKIP_3) | instid1(VALU_DEP_1)
	v_add_f16_e32 v14, v16, v15
	v_sub_f16_e32 v15, v15, v16
	s_wait_loadcnt 0x7
	v_lshrrev_b32_e32 v19, 16, v1
	v_fma_f16 v16, v8, v19, v18
	s_delay_alu instid0(VALU_DEP_3) | instskip(SKIP_2) | instid1(VALU_DEP_4)
	v_fma_f16 v20, v14, v19, v15
	v_fma_f16 v18, -v8, v19, v18
	v_fma_f16 v15, v14, v19, -v15
	v_fma_f16 v16, -v1, v14, v16
	s_delay_alu instid0(VALU_DEP_4) | instskip(NEXT) | instid1(VALU_DEP_4)
	v_fmac_f16_e32 v20, v8, v1
	v_fmac_f16_e32 v18, v1, v14
	s_delay_alu instid0(VALU_DEP_4) | instskip(NEXT) | instid1(VALU_DEP_3)
	v_fmac_f16_e32 v15, v8, v1
	v_pack_b32_f16 v1, v16, v20
	s_wait_loadcnt 0x6
	v_lshrrev_b32_e32 v16, 16, v9
	s_delay_alu instid0(VALU_DEP_3)
	v_pack_b32_f16 v8, v18, v15
	ds_store_b32 v37, v1 offset:68
	ds_store_b32 v6, v8 offset:1564
	ds_load_b32 v1, v37 offset:136
	ds_load_b32 v8, v6 offset:1496
	s_wait_dscnt 0x1
	v_lshrrev_b32_e32 v14, 16, v1
	s_wait_dscnt 0x0
	v_lshrrev_b32_e32 v15, 16, v8
	v_add_f16_e32 v18, v1, v8
	v_sub_f16_e32 v1, v1, v8
	s_delay_alu instid0(VALU_DEP_3) | instskip(SKIP_1) | instid1(VALU_DEP_3)
	v_add_f16_e32 v8, v15, v14
	v_sub_f16_e32 v14, v14, v15
	v_fma_f16 v15, v1, v16, v18
	v_fma_f16 v18, -v1, v16, v18
	s_delay_alu instid0(VALU_DEP_3) | instskip(SKIP_1) | instid1(VALU_DEP_4)
	v_fma_f16 v19, v8, v16, v14
	v_fma_f16 v14, v8, v16, -v14
	v_fma_f16 v15, -v9, v8, v15
	s_delay_alu instid0(VALU_DEP_4)
	v_fmac_f16_e32 v18, v9, v8
	s_wait_loadcnt 0x5
	v_lshrrev_b32_e32 v16, 16, v10
	v_fmac_f16_e32 v19, v1, v9
	v_fmac_f16_e32 v14, v1, v9
	global_load_b32 v9, v[4:5], off offset:612
	v_pack_b32_f16 v1, v15, v19
	v_pack_b32_f16 v8, v18, v14
	ds_store_b32 v37, v1 offset:136
	ds_store_b32 v6, v8 offset:1496
	ds_load_b32 v1, v37 offset:204
	ds_load_b32 v8, v6 offset:1428
	s_wait_dscnt 0x1
	v_lshrrev_b32_e32 v14, 16, v1
	s_wait_dscnt 0x0
	v_lshrrev_b32_e32 v15, 16, v8
	v_add_f16_e32 v18, v1, v8
	v_sub_f16_e32 v1, v1, v8
	s_delay_alu instid0(VALU_DEP_3) | instskip(SKIP_1) | instid1(VALU_DEP_3)
	v_add_f16_e32 v8, v15, v14
	v_sub_f16_e32 v14, v14, v15
	v_fma_f16 v15, v1, v16, v18
	v_fma_f16 v18, -v1, v16, v18
	s_delay_alu instid0(VALU_DEP_3) | instskip(SKIP_1) | instid1(VALU_DEP_4)
	v_fma_f16 v19, v8, v16, v14
	v_fma_f16 v14, v8, v16, -v14
	v_fma_f16 v15, -v10, v8, v15
	s_delay_alu instid0(VALU_DEP_4)
	v_fmac_f16_e32 v18, v10, v8
	s_wait_loadcnt 0x5
	v_lshrrev_b32_e32 v16, 16, v11
	v_fmac_f16_e32 v19, v1, v10
	v_fmac_f16_e32 v14, v1, v10
	global_load_b32 v10, v[4:5], off offset:680
	v_pack_b32_f16 v1, v15, v19
	v_pack_b32_f16 v8, v18, v14
	ds_store_b32 v37, v1 offset:204
	ds_store_b32 v6, v8 offset:1428
	ds_load_b32 v1, v37 offset:272
	ds_load_b32 v8, v6 offset:1360
	s_wait_dscnt 0x1
	v_lshrrev_b32_e32 v14, 16, v1
	s_wait_dscnt 0x0
	v_lshrrev_b32_e32 v15, 16, v8
	v_add_f16_e32 v18, v1, v8
	v_sub_f16_e32 v1, v1, v8
	s_delay_alu instid0(VALU_DEP_3) | instskip(SKIP_1) | instid1(VALU_DEP_3)
	v_add_f16_e32 v8, v15, v14
	v_sub_f16_e32 v14, v14, v15
	v_fma_f16 v15, v1, v16, v18
	v_fma_f16 v18, -v1, v16, v18
	s_delay_alu instid0(VALU_DEP_3) | instskip(SKIP_1) | instid1(VALU_DEP_4)
	v_fma_f16 v19, v8, v16, v14
	v_fma_f16 v14, v8, v16, -v14
	v_fma_f16 v15, -v11, v8, v15
	s_delay_alu instid0(VALU_DEP_4) | instskip(NEXT) | instid1(VALU_DEP_4)
	v_fmac_f16_e32 v18, v11, v8
	v_fmac_f16_e32 v19, v1, v11
	s_delay_alu instid0(VALU_DEP_4)
	v_fmac_f16_e32 v14, v1, v11
	global_load_b32 v11, v[4:5], off offset:748
	v_pack_b32_f16 v1, v15, v19
	v_pack_b32_f16 v8, v18, v14
	ds_store_b32 v37, v1 offset:272
	ds_store_b32 v6, v8 offset:1360
	ds_load_b32 v1, v37 offset:340
	ds_load_b32 v4, v6 offset:1292
	s_wait_loadcnt 0x6
	v_lshrrev_b32_e32 v14, 16, v12
	s_wait_dscnt 0x1
	v_lshrrev_b32_e32 v5, 16, v1
	s_wait_dscnt 0x0
	v_lshrrev_b32_e32 v8, 16, v4
	v_add_f16_e32 v15, v1, v4
	v_sub_f16_e32 v1, v1, v4
	s_delay_alu instid0(VALU_DEP_3) | instskip(SKIP_1) | instid1(VALU_DEP_3)
	v_add_f16_e32 v4, v8, v5
	v_sub_f16_e32 v5, v5, v8
	v_fma_f16 v8, v1, v14, v15
	v_fma_f16 v15, -v1, v14, v15
	s_delay_alu instid0(VALU_DEP_3) | instskip(SKIP_1) | instid1(VALU_DEP_4)
	v_fma_f16 v16, v4, v14, v5
	v_fma_f16 v5, v4, v14, -v5
	v_fma_f16 v8, -v12, v4, v8
	s_delay_alu instid0(VALU_DEP_4) | instskip(NEXT) | instid1(VALU_DEP_4)
	v_fmac_f16_e32 v15, v12, v4
	v_fmac_f16_e32 v16, v1, v12
	s_delay_alu instid0(VALU_DEP_4) | instskip(SKIP_2) | instid1(VALU_DEP_3)
	v_fmac_f16_e32 v5, v1, v12
	s_wait_loadcnt 0x5
	v_lshrrev_b32_e32 v12, 16, v13
	v_pack_b32_f16 v1, v8, v16
	s_delay_alu instid0(VALU_DEP_3)
	v_pack_b32_f16 v4, v15, v5
	ds_store_b32 v37, v1 offset:340
	ds_store_b32 v6, v4 offset:1292
	ds_load_b32 v1, v37 offset:408
	ds_load_b32 v4, v6 offset:1224
	s_wait_dscnt 0x1
	v_lshrrev_b32_e32 v5, 16, v1
	s_wait_dscnt 0x0
	v_lshrrev_b32_e32 v8, 16, v4
	v_add_f16_e32 v14, v1, v4
	v_sub_f16_e32 v1, v1, v4
	s_delay_alu instid0(VALU_DEP_3) | instskip(SKIP_1) | instid1(VALU_DEP_3)
	v_add_f16_e32 v4, v8, v5
	v_sub_f16_e32 v5, v5, v8
	v_fma_f16 v8, v1, v12, v14
	v_fma_f16 v14, -v1, v12, v14
	s_delay_alu instid0(VALU_DEP_3) | instskip(SKIP_1) | instid1(VALU_DEP_4)
	v_fma_f16 v15, v4, v12, v5
	v_fma_f16 v5, v4, v12, -v5
	v_fma_f16 v8, -v13, v4, v8
	s_delay_alu instid0(VALU_DEP_4) | instskip(SKIP_4) | instid1(VALU_DEP_2)
	v_fmac_f16_e32 v14, v13, v4
	s_wait_loadcnt 0x4
	v_lshrrev_b32_e32 v12, 16, v7
	v_fmac_f16_e32 v15, v1, v13
	v_fmac_f16_e32 v5, v1, v13
	v_pack_b32_f16 v1, v8, v15
	s_delay_alu instid0(VALU_DEP_2)
	v_pack_b32_f16 v4, v14, v5
	ds_store_b32 v37, v1 offset:408
	ds_store_b32 v6, v4 offset:1224
	ds_load_b32 v1, v37 offset:476
	ds_load_b32 v4, v6 offset:1156
	s_wait_dscnt 0x1
	v_lshrrev_b32_e32 v5, 16, v1
	s_wait_dscnt 0x0
	v_lshrrev_b32_e32 v8, 16, v4
	v_add_f16_e32 v13, v1, v4
	v_sub_f16_e32 v1, v1, v4
	s_delay_alu instid0(VALU_DEP_3) | instskip(SKIP_1) | instid1(VALU_DEP_3)
	v_add_f16_e32 v4, v8, v5
	v_sub_f16_e32 v5, v5, v8
	v_fma_f16 v8, v1, v12, v13
	v_fma_f16 v13, -v1, v12, v13
	s_delay_alu instid0(VALU_DEP_3) | instskip(SKIP_1) | instid1(VALU_DEP_4)
	v_fma_f16 v14, v4, v12, v5
	v_fma_f16 v5, v4, v12, -v5
	v_fma_f16 v8, -v7, v4, v8
	s_delay_alu instid0(VALU_DEP_4) | instskip(NEXT) | instid1(VALU_DEP_4)
	v_fmac_f16_e32 v13, v7, v4
	v_fmac_f16_e32 v14, v1, v7
	s_delay_alu instid0(VALU_DEP_4) | instskip(NEXT) | instid1(VALU_DEP_2)
	v_fmac_f16_e32 v5, v1, v7
	v_pack_b32_f16 v1, v8, v14
	s_delay_alu instid0(VALU_DEP_2)
	v_pack_b32_f16 v4, v13, v5
	ds_store_b32 v37, v1 offset:476
	ds_store_b32 v6, v4 offset:1156
	ds_load_b32 v1, v37 offset:544
	ds_load_b32 v4, v6 offset:1088
	s_wait_loadcnt 0x3
	v_lshrrev_b32_e32 v8, 16, v17
	s_wait_dscnt 0x1
	v_lshrrev_b32_e32 v5, 16, v1
	s_wait_dscnt 0x0
	v_lshrrev_b32_e32 v7, 16, v4
	v_add_f16_e32 v12, v1, v4
	v_sub_f16_e32 v1, v1, v4
	s_delay_alu instid0(VALU_DEP_3) | instskip(SKIP_1) | instid1(VALU_DEP_3)
	v_add_f16_e32 v4, v7, v5
	v_sub_f16_e32 v5, v5, v7
	v_fma_f16 v7, v1, v8, v12
	v_fma_f16 v12, -v1, v8, v12
	s_delay_alu instid0(VALU_DEP_3) | instskip(SKIP_1) | instid1(VALU_DEP_4)
	v_fma_f16 v13, v4, v8, v5
	v_fma_f16 v5, v4, v8, -v5
	v_fma_f16 v7, -v17, v4, v7
	s_delay_alu instid0(VALU_DEP_4) | instskip(NEXT) | instid1(VALU_DEP_4)
	v_fmac_f16_e32 v12, v17, v4
	v_fmac_f16_e32 v13, v1, v17
	s_delay_alu instid0(VALU_DEP_4) | instskip(SKIP_1) | instid1(VALU_DEP_3)
	v_fmac_f16_e32 v5, v1, v17
	v_xor_b32_e32 v1, 0xff, v0
	v_pack_b32_f16 v4, v7, v13
	s_delay_alu instid0(VALU_DEP_3) | instskip(NEXT) | instid1(VALU_DEP_3)
	v_pack_b32_f16 v5, v12, v5
	v_lshl_add_u32 v1, v1, 2, v36
	ds_store_b32 v37, v4 offset:544
	ds_store_b32 v6, v5 offset:1088
	ds_load_b32 v4, v37 offset:612
	ds_load_b32 v5, v1
	s_wait_dscnt 0x1
	v_lshrrev_b32_e32 v7, 16, v4
	s_wait_dscnt 0x0
	v_lshrrev_b32_e32 v8, 16, v5
	v_add_f16_e32 v13, v4, v5
	v_sub_f16_e32 v4, v4, v5
	s_delay_alu instid0(VALU_DEP_3) | instskip(SKIP_3) | instid1(VALU_DEP_1)
	v_add_f16_e32 v5, v8, v7
	v_sub_f16_e32 v7, v7, v8
	s_wait_loadcnt 0x2
	v_lshrrev_b32_e32 v12, 16, v9
	v_fma_f16 v8, v4, v12, v13
	s_delay_alu instid0(VALU_DEP_3) | instskip(SKIP_2) | instid1(VALU_DEP_4)
	v_fma_f16 v14, v5, v12, v7
	v_fma_f16 v13, -v4, v12, v13
	v_fma_f16 v7, v5, v12, -v7
	v_fma_f16 v8, -v9, v5, v8
	s_delay_alu instid0(VALU_DEP_4) | instskip(NEXT) | instid1(VALU_DEP_4)
	v_fmac_f16_e32 v14, v4, v9
	v_fmac_f16_e32 v13, v9, v5
	s_delay_alu instid0(VALU_DEP_4) | instskip(NEXT) | instid1(VALU_DEP_3)
	v_fmac_f16_e32 v7, v4, v9
	v_pack_b32_f16 v4, v8, v14
	s_delay_alu instid0(VALU_DEP_2)
	v_pack_b32_f16 v5, v13, v7
	ds_store_b32 v37, v4 offset:612
	ds_store_b32 v1, v5
	ds_load_b32 v1, v37 offset:680
	ds_load_b32 v4, v6 offset:952
	s_wait_dscnt 0x1
	v_lshrrev_b32_e32 v5, 16, v1
	s_wait_dscnt 0x0
	v_lshrrev_b32_e32 v7, 16, v4
	v_add_f16_e32 v9, v1, v4
	v_sub_f16_e32 v1, v1, v4
	s_wait_loadcnt 0x1
	v_lshrrev_b32_e32 v8, 16, v10
	v_add_f16_e32 v4, v7, v5
	v_sub_f16_e32 v5, v5, v7
	s_delay_alu instid0(VALU_DEP_3) | instskip(SKIP_1) | instid1(VALU_DEP_3)
	v_fma_f16 v7, v1, v8, v9
	v_fma_f16 v9, -v1, v8, v9
	v_fma_f16 v12, v4, v8, v5
	v_fma_f16 v5, v4, v8, -v5
	s_delay_alu instid0(VALU_DEP_4) | instskip(NEXT) | instid1(VALU_DEP_4)
	v_fma_f16 v7, -v10, v4, v7
	v_fmac_f16_e32 v9, v10, v4
	s_delay_alu instid0(VALU_DEP_4) | instskip(NEXT) | instid1(VALU_DEP_4)
	v_fmac_f16_e32 v12, v1, v10
	v_fmac_f16_e32 v5, v1, v10
	s_delay_alu instid0(VALU_DEP_2) | instskip(NEXT) | instid1(VALU_DEP_2)
	v_pack_b32_f16 v1, v7, v12
	v_pack_b32_f16 v4, v9, v5
	ds_store_b32 v37, v1 offset:680
	ds_store_b32 v6, v4 offset:952
	ds_load_b32 v1, v37 offset:748
	ds_load_b32 v4, v6 offset:884
	s_wait_dscnt 0x1
	v_lshrrev_b32_e32 v5, 16, v1
	s_wait_dscnt 0x0
	v_lshrrev_b32_e32 v7, 16, v4
	v_add_f16_e32 v9, v1, v4
	v_sub_f16_e32 v10, v1, v4
	s_wait_loadcnt 0x0
	v_lshrrev_b32_e32 v8, 16, v11
	v_add_f16_e32 v12, v7, v5
	v_sub_f16_e32 v1, v5, v7
	s_delay_alu instid0(VALU_DEP_3) | instskip(SKIP_1) | instid1(VALU_DEP_3)
	v_fma_f16 v13, v10, v8, v9
	v_fma_f16 v4, -v10, v8, v9
	v_fma_f16 v5, v12, v8, v1
	v_fma_f16 v7, v12, v8, -v1
	v_lshl_add_u32 v1, v0, 2, 0
	v_fma_f16 v8, -v11, v12, v13
	v_fmac_f16_e32 v4, v11, v12
	v_fmac_f16_e32 v5, v10, v11
	;; [unrolled: 1-line block ×3, first 2 shown]
	v_add_nc_u32_e32 v1, v1, v38
	v_mul_u32_u24_e32 v9, 0x44, v0
	s_delay_alu instid0(VALU_DEP_4) | instskip(NEXT) | instid1(VALU_DEP_4)
	v_pack_b32_f16 v5, v8, v5
	v_pack_b32_f16 v4, v4, v7
	s_delay_alu instid0(VALU_DEP_4) | instskip(NEXT) | instid1(VALU_DEP_4)
	v_add_nc_u32_e32 v39, 0x400, v1
	v_add3_u32 v41, 0, v9, v38
	ds_store_b32 v37, v5 offset:748
	ds_store_b32 v6, v4 offset:884
	global_wb scope:SCOPE_SE
	s_wait_dscnt 0x0
	s_barrier_signal -1
	s_barrier_wait -1
	global_inv scope:SCOPE_SE
	global_wb scope:SCOPE_SE
	s_barrier_signal -1
	s_barrier_wait -1
	global_inv scope:SCOPE_SE
	ds_load_2addr_b32 v[4:5], v1 offset0:17 offset1:24
	ds_load_2addr_b32 v[6:7], v39 offset0:121 offset1:128
	;; [unrolled: 1-line block ×14, first 2 shown]
	ds_load_b32 v51, v37
	ds_load_2addr_b32 v[22:23], v1 offset0:185 offset1:192
	ds_load_2addr_b32 v[20:21], v1 offset0:209 offset1:216
	ds_load_b32 v40, v1 offset:1604
	global_wb scope:SCOPE_SE
	s_wait_dscnt 0x0
	s_barrier_signal -1
	s_barrier_wait -1
	v_pk_add_f16 v52, v7, v5
	v_pk_add_f16 v53, v5, v7 neg_lo:[0,1] neg_hi:[0,1]
	v_pk_add_f16 v54, v9, v35
	v_pk_add_f16 v55, v35, v9 neg_lo:[0,1] neg_hi:[0,1]
	;; [unrolled: 2-line block ×3, first 2 shown]
	v_pk_add_f16 v58, v31, v13 neg_lo:[0,1] neg_hi:[0,1]
	v_pk_add_f16 v59, v13, v31
	v_pk_add_f16 v60, v29, v15 neg_lo:[0,1] neg_hi:[0,1]
	v_pk_add_f16 v61, v15, v29
	;; [unrolled: 2-line block ×3, first 2 shown]
	v_pk_mul_f16 v42, 0xb5c8, v53 op_sel_hi:[0,1]
	v_pk_add_f16 v5, v51, v5
	v_lshrrev_b32_e32 v43, 16, v53
	v_lshrrev_b32_e32 v44, 16, v52
	v_pk_mul_f16 v45, 0xb964, v55 op_sel_hi:[0,1]
	v_lshrrev_b32_e32 v46, 16, v55
	v_pk_add_f16 v5, v5, v35
	v_lshrrev_b32_e32 v47, 16, v54
	v_pk_mul_f16 v48, 0xbb29, v57 op_sel_hi:[0,1]
	v_lshrrev_b32_e32 v49, 16, v57
	v_lshrrev_b32_e32 v50, 16, v56
	v_pk_mul_f16 v68, 0xbbf7, v58 op_sel_hi:[0,1]
	v_lshrrev_b32_e32 v69, 16, v58
	;; [unrolled: 3-line block ×4, first 2 shown]
	v_lshrrev_b32_e32 v78, 16, v63
	v_pk_add_f16 v5, v5, v33
	v_pk_mul_f16 v65, 0xbbdd, v52 op_sel_hi:[0,1]
	v_pk_mul_f16 v66, 0x3b76, v54 op_sel_hi:[0,1]
	;; [unrolled: 1-line block ×6, first 2 shown]
	v_pk_fma_f16 v80, 0x3b76, v52, v42 op_sel:[0,0,1] op_sel_hi:[0,1,0]
	v_pk_fma_f16 v81, 0x3b76, v52, v42 op_sel:[0,0,1] op_sel_hi:[0,1,0] neg_lo:[0,0,1] neg_hi:[0,0,1]
	v_mul_f16_e32 v82, 0xb964, v43
	v_mul_f16_e32 v83, 0x39e9, v44
	v_mul_f16_e32 v84, 0xbb29, v43
	v_mul_f16_e32 v85, 0x3722, v44
	v_mul_f16_e32 v86, 0xbbf7, v43
	v_mul_f16_e32 v87, 0x2de8, v44
	v_mul_f16_e32 v88, 0xbbb2, v43
	v_mul_f16_e32 v89, 0xb461, v44
	v_mul_f16_e32 v90, 0xba62, v43
	v_mul_f16_e32 v91, 0xb8d2, v44
	v_mul_f16_e32 v92, 0xb836, v43
	v_mul_f16_e32 v93, 0xbacd, v44
	v_pk_fma_f16 v94, 0x39e9, v54, v45 op_sel:[0,0,1] op_sel_hi:[0,1,0]
	v_pk_fma_f16 v95, 0x39e9, v54, v45 op_sel:[0,0,1] op_sel_hi:[0,1,0] neg_lo:[0,0,1] neg_hi:[0,0,1]
	v_mul_f16_e32 v96, 0xbbf7, v46
	v_mul_f16_e32 v97, 0x2de8, v47
	v_mul_f16_e32 v98, 0xba62, v46
	v_mul_f16_e32 v99, 0xb8d2, v47
	v_mul_f16_e32 v100, 0xb1e1, v46
	v_mul_f16_e32 v101, 0xbbdd, v47
	v_mul_f16_e32 v102, 0x3836, v46
	v_mul_f16_e32 v103, 0xbacd, v47
	v_mul_f16_e32 v104, 0x3bb2, v46
	v_mul_f16_e32 v105, 0xb461, v47
	v_mul_f16_e32 v106, 0x3b29, v46
	v_mul_f16_e32 v107, 0x3722, v47
	;; [unrolled: 14-line block ×3, first 2 shown]
	v_pk_fma_f16 v44, 0x2de8, v59, v68 op_sel:[0,0,1] op_sel_hi:[0,1,0]
	v_pk_fma_f16 v45, 0x2de8, v59, v68 op_sel:[0,0,1] op_sel_hi:[0,1,0] neg_lo:[0,0,1] neg_hi:[0,0,1]
	v_mul_f16_e32 v68, 0xb1e1, v69
	v_mul_f16_e32 v123, 0x3bb2, v69
	;; [unrolled: 1-line block ×7, first 2 shown]
	v_mul_f16_e64 v128, 0xb461, v70
	v_mul_f16_e64 v129, 0x3b76, v70
	;; [unrolled: 1-line block ×4, first 2 shown]
	v_mul_f16_e32 v70, 0xb8d2, v70
	v_pk_fma_f16 v46, 0xb461, v61, v72 op_sel:[0,0,1] op_sel_hi:[0,1,0]
	v_pk_fma_f16 v47, 0xb461, v61, v72 op_sel:[0,0,1] op_sel_hi:[0,1,0] neg_lo:[0,0,1] neg_hi:[0,0,1]
	v_mul_f16_e32 v72, 0x3836, v73
	v_mul_f16_e64 v133, 0x3964, v73
	v_mul_f16_e64 v134, 0xbb29, v73
	;; [unrolled: 1-line block ×4, first 2 shown]
	v_mul_f16_e32 v73, 0xb5c8, v73
	v_mul_f16_e64 v137, 0xbacd, v74
	v_mul_f16_e64 v138, 0x39e9, v74
	;; [unrolled: 1-line block ×5, first 2 shown]
	v_mul_f16_e32 v74, 0x3b76, v74
	v_pk_fma_f16 v48, 0xb8d2, v63, v76 op_sel:[0,0,1] op_sel_hi:[0,1,0]
	v_pk_fma_f16 v49, 0xb8d2, v63, v76 op_sel:[0,0,1] op_sel_hi:[0,1,0] neg_lo:[0,0,1] neg_hi:[0,0,1]
	v_mul_f16_e32 v76, 0x3bb2, v77
	v_mul_f16_e64 v143, 0xb5c8, v77
	v_mul_f16_e64 v144, 0xb836, v77
	;; [unrolled: 1-line block ×4, first 2 shown]
	v_mul_f16_e32 v77, 0xb1e1, v77
	v_mul_f16_e64 v147, 0xb461, v78
	v_mul_f16_e64 v148, 0x3b76, v78
	;; [unrolled: 1-line block ×5, first 2 shown]
	v_mul_f16_e32 v78, 0xbbdd, v78
	v_pk_add_f16 v5, v5, v31
	v_pk_fma_f16 v114, 0xb1e1, v53, v65 op_sel:[0,0,1] op_sel_hi:[0,1,0]
	v_pk_fma_f16 v65, 0xb1e1, v53, v65 op_sel:[0,0,1] op_sel_hi:[0,1,0] neg_lo:[0,1,0] neg_hi:[0,1,0]
	v_pk_fma_f16 v115, 0x35c8, v55, v66 op_sel:[0,0,1] op_sel_hi:[0,1,0]
	v_pk_fma_f16 v66, 0x35c8, v55, v66 op_sel:[0,0,1] op_sel_hi:[0,1,0] neg_lo:[0,1,0] neg_hi:[0,1,0]
	;; [unrolled: 2-line block ×6, first 2 shown]
	v_fma_f16 v152, 0x39e9, v52, v82
	v_fma_f16 v153, 0x3964, v53, v83
	v_fma_f16 v82, v52, 0x39e9, -v82
	v_fmac_f16_e32 v83, 0xb964, v53
	v_fma_f16 v154, 0x3722, v52, v84
	v_fma_f16 v155, 0x3b29, v53, v85
	v_fma_f16 v84, v52, 0x3722, -v84
	v_fmac_f16_e32 v85, 0xbb29, v53
	;; [unrolled: 4-line block ×6, first 2 shown]
	v_fmamk_f16 v53, v54, 0x2de8, v96
	v_fmamk_f16 v92, v55, 0x3bf7, v97
	v_fma_f16 v96, v54, 0x2de8, -v96
	v_fmac_f16_e32 v97, 0xbbf7, v55
	v_fma_f16 v164, 0xb8d2, v54, v98
	v_fma_f16 v165, 0x3a62, v55, v99
	v_fma_f16 v98, v54, 0xb8d2, -v98
	v_fmac_f16_e32 v99, 0xba62, v55
	v_fma_f16 v166, 0xbbdd, v54, v100
	v_fma_f16 v167, 0x31e1, v55, v101
	;; [unrolled: 4-line block ×5, first 2 shown]
	v_fma_f16 v54, v54, 0x3722, -v106
	v_fmac_f16_e32 v107, 0x3b29, v55
	v_fmamk_f16 v55, v56, 0xb8d2, v108
	v_fma_f16 v106, v56, 0xb8d2, -v108
	v_fmamk_f16 v108, v56, 0xbbdd, v109
	v_fma_f16 v109, v56, 0xbbdd, -v109
	v_fma_f16 v174, 0xb461, v56, v110
	v_fma_f16 v110, v56, 0xb461, -v110
	v_fma_f16 v175, 0x39e9, v56, v111
	;; [unrolled: 2-line block ×4, first 2 shown]
	v_fma_f16 v56, v56, 0x2de8, -v113
	v_fmamk_f16 v113, v57, 0x3a62, v116
	v_fmac_f16_e32 v116, 0xba62, v57
	v_fma_f16 v178, 0xb1e1, v57, v117
	v_fmac_f16_e32 v117, 0x31e1, v57
	v_fma_f16 v179, 0xbbb2, v57, v118
	;; [unrolled: 2-line block ×5, first 2 shown]
	v_fmac_f16_e32 v121, 0xbbf7, v57
	v_fmamk_f16 v57, v59, 0xbbdd, v68
	v_fma_f16 v68, v59, 0xbbdd, -v68
	v_fma_f16 v183, 0xb461, v59, v123
	v_fma_f16 v123, v59, 0xb461, -v123
	v_fma_f16 v184, 0x3b76, v59, v124
	;; [unrolled: 2-line block ×5, first 2 shown]
	v_fma_f16 v59, v59, 0xb8d2, -v69
	v_fmamk_f16 v69, v58, 0x31e1, v127
	v_fmac_f16_e32 v127, 0xb1e1, v58
	v_fma_f16 v188, 0xbbb2, v58, v128
	v_fmac_f16_e64 v128, 0x3bb2, v58
	v_fma_f16 v189, 0xb5c8, v58, v129
	v_fmac_f16_e64 v129, 0x35c8, v58
	;; [unrolled: 2-line block ×4, first 2 shown]
	v_fma_f16 v192, 0xba62, v58, v70
	v_fmac_f16_e32 v70, 0x3a62, v58
	v_fmamk_f16 v58, v61, 0xbacd, v72
	v_fma_f16 v72, v61, 0xbacd, -v72
	v_fma_f16 v193, 0x39e9, v61, v133
	v_fma_f16 v133, v61, 0x39e9, -v133
	v_fma_f16 v194, 0x3722, v61, v134
	;; [unrolled: 2-line block ×6, first 2 shown]
	v_fmac_f16_e64 v137, 0x3836, v60
	v_fma_f16 v198, 0xb964, v60, v138
	v_fmac_f16_e64 v138, 0x3964, v60
	v_fma_f16 v199, 0x3b29, v60, v139
	;; [unrolled: 2-line block ×5, first 2 shown]
	v_fmac_f16_e32 v74, 0xb5c8, v60
	v_fmamk_f16 v60, v63, 0xb461, v76
	v_fma_f16 v76, v63, 0xb461, -v76
	v_fma_f16 v203, 0x3b76, v63, v143
	v_fma_f16 v143, v63, 0x3b76, -v143
	v_fma_f16 v204, 0xbacd, v63, v144
	;; [unrolled: 2-line block ×6, first 2 shown]
	v_fmac_f16_e64 v147, 0x3bb2, v62
	v_fma_f16 v208, 0x35c8, v62, v148
	v_fmac_f16_e64 v148, 0xb5c8, v62
	v_fma_f16 v209, 0x3836, v62, v149
	;; [unrolled: 2-line block ×5, first 2 shown]
	v_fmac_f16_e32 v78, 0xb1e1, v62
	v_bfi_b32 v62, 0xffff, v80, v81
	v_bfi_b32 v80, 0xffff, v81, v80
	;; [unrolled: 1-line block ×4, first 2 shown]
	s_wait_alu 0xf1ff
	v_alignbit_b32 v95, s0, v51, 16
	v_pk_add_f16 v5, v5, v29
	v_lshrrev_b32_e32 v64, 16, v51
	v_pk_add_f16 v62, v51, v62
	v_add_f16_e64 v152, v51, v152
	v_pk_add_f16 v95, v95, v114
	v_alignbit_b32 v114, s0, v114, 16
	v_pk_add_f16 v5, v5, v27
	v_add_f16_e64 v153, v64, v153
	v_add_f16_e32 v85, v64, v85
	v_add_f16_e64 v157, v64, v157
	v_pk_add_f16 v62, v81, v62
	v_pk_add_f16 v81, v23, v21 neg_lo:[0,1] neg_hi:[0,1]
	v_add_f16_e64 v154, v51, v154
	v_add_f16_e32 v84, v51, v84
	v_add_f16_e64 v156, v51, v156
	v_add_f16_e32 v86, v51, v86
	v_pk_add_f16 v114, v51, v114
	v_pk_add_f16 v95, v115, v95
	v_alignbit_b32 v115, s0, v115, 16
	v_pk_add_f16 v5, v5, v25
	v_pk_add_f16 v65, v51, v65 op_sel:[1,0] op_sel_hi:[0,1]
	v_add_f16_e64 v53, v53, v152
	v_add_f16_e32 v82, v51, v82
	v_add_f16_e64 v158, v51, v158
	v_add_f16_e32 v88, v51, v88
	;; [unrolled: 2-line block ×4, first 2 shown]
	v_pk_add_f16 v80, v51, v80
	v_add_f16_e64 v51, v92, v153
	v_add_f16_e64 v153, v164, v154
	v_lshrrev_b32_e32 v164, 16, v81
	v_add_f16_e32 v84, v98, v84
	v_add_f16_e32 v35, v99, v85
	v_add_f16_e64 v99, v166, v156
	v_add_f16_e64 v157, v167, v157
	v_add_f16_e32 v86, v100, v86
	v_pk_add_f16 v114, v115, v114
	v_bfi_b32 v115, 0xffff, v42, v43
	v_pk_add_f16 v5, v5, v23
	v_add_f16_e32 v83, v64, v83
	v_add_f16_e64 v155, v64, v155
	v_add_f16_e32 v87, v64, v87
	v_add_f16_e64 v159, v64, v159
	v_add_f16_e32 v89, v64, v89
	v_add_f16_e64 v161, v64, v161
	v_add_f16_e32 v91, v64, v91
	v_add_f16_e64 v163, v64, v163
	v_add_f16_e32 v64, v64, v93
	v_pk_add_f16 v93, v25, v19 neg_lo:[0,1] neg_hi:[0,1]
	v_pk_add_f16 v65, v66, v65
	v_pk_add_f16 v66, v19, v25
	;; [unrolled: 1-line block ×4, first 2 shown]
	v_add_f16_e32 v53, v55, v53
	v_add_f16_e32 v51, v113, v51
	;; [unrolled: 1-line block ×3, first 2 shown]
	v_add_f16_e64 v99, v174, v99
	v_mul_f16_e64 v33, 0xbbb2, v164
	v_add_f16_e64 v157, v179, v157
	v_add_f16_e32 v86, v110, v86
	v_bfi_b32 v110, 0xffff, v44, v45
	v_pk_add_f16 v5, v5, v21
	v_pk_mul_f16 v92, 0xb836, v93 op_sel_hi:[0,1]
	v_add_f16_e32 v82, v96, v82
	v_lshrrev_b32_e32 v96, 16, v93
	v_add_f16_e32 v83, v97, v83
	v_lshrrev_b32_e32 v97, 16, v66
	v_add_f16_e32 v88, v102, v88
	v_bfi_b32 v174, 0xffff, v46, v47
	v_pk_add_f16 v62, v110, v62
	v_add_f16_e32 v53, v57, v53
	v_add_f16_e32 v51, v69, v51
	;; [unrolled: 1-line block ×3, first 2 shown]
	v_fma_f16 v84, 0xb461, v152, v33
	v_fma_f16 v27, v152, 0xb461, -v33
	v_add_f16_e64 v33, v184, v99
	v_add_f16_e64 v25, v189, v157
	v_pk_add_f16 v5, v5, v19
	v_pk_mul_f16 v154, 0xb1e1, v81 op_sel_hi:[0,1]
	v_add_f16_e64 v155, v165, v155
	v_lshrrev_b32_e32 v98, 16, v152
	v_pk_fma_f16 v85, 0xbacd, v66, v92 op_sel:[0,0,1] op_sel_hi:[0,1,0]
	v_pk_fma_f16 v92, 0xbacd, v66, v92 op_sel:[0,0,1] op_sel_hi:[0,1,0] neg_lo:[0,0,1] neg_hi:[0,0,1]
	v_mul_f16_e64 v156, 0x3b29, v96
	v_mul_f16_e32 v100, 0x3a62, v96
	v_add_f16_e64 v160, v170, v160
	v_add_f16_e64 v161, v171, v161
	v_add_f16_e32 v91, v105, v91
	v_mul_f16_e32 v105, 0x3722, v97
	v_mul_f16_e64 v171, 0xb8d2, v97
	v_add_f16_e32 v88, v111, v88
	v_bfi_b32 v111, 0xffff, v48, v49
	v_pk_add_f16 v23, v174, v62
	v_add_f16_e32 v53, v58, v53
	v_add_f16_e32 v51, v73, v51
	v_add_f16_e64 v33, v194, v33
	v_add_f16_e64 v25, v199, v25
	v_pk_add_f16 v5, v5, v17
	v_add_f16_e32 v87, v101, v87
	v_add_f16_e64 v158, v168, v158
	v_add_f16_e64 v159, v169, v159
	v_add_f16_e32 v89, v103, v89
	v_add_f16_e32 v90, v104, v90
	v_add_f16_e64 v162, v172, v162
	v_add_f16_e64 v163, v173, v163
	v_fma_f16 v167, 0x3722, v66, v156
	v_fmamk_f16 v103, v66, 0xb8d2, v100
	v_add_f16_e32 v64, v107, v64
	v_pk_add_f16 v65, v67, v65
	v_pk_fma_f16 v67, 0xbbdd, v152, v154 op_sel:[0,0,1] op_sel_hi:[0,1,0]
	v_pk_fma_f16 v154, 0xbbdd, v152, v154 op_sel:[0,0,1] op_sel_hi:[0,1,0] neg_lo:[0,0,1] neg_hi:[0,0,1]
	v_mul_f16_e64 v115, 0x35c8, v164
	v_mul_f16_e32 v55, 0x3b76, v98
	v_add_f16_e32 v83, v116, v83
	v_mul_f16_e64 v116, 0x3964, v164
	v_add_f16_e64 v108, v108, v153
	v_mul_f16_e64 v153, 0x39e9, v98
	v_add_f16_e64 v155, v178, v155
	v_pk_add_f16 v95, v122, v95
	v_alignbit_b32 v122, s0, v122, 16
	v_add_f16_e64 v160, v176, v160
	v_bfi_b32 v176, 0xffff, v85, v92
	v_fma_f16 v178, 0xbb29, v93, v105
	v_add_f16_e32 v91, v120, v91
	v_fma_f16 v120, 0xba62, v93, v171
	v_pk_add_f16 v23, v111, v23
	v_add_f16_e32 v53, v60, v53
	v_add_f16_e32 v51, v77, v51
	v_add_f16_e64 v33, v204, v33
	v_add_f16_e64 v25, v209, v25
	v_pk_add_f16 v5, v5, v15
	v_add_f16_e32 v52, v54, v52
	v_add_f16_e32 v82, v106, v82
	v_add_f16_e32 v35, v117, v35
	v_add_f16_e32 v87, v118, v87
	v_add_f16_e64 v158, v175, v158
	v_add_f16_e64 v159, v180, v159
	v_add_f16_e32 v89, v119, v89
	v_add_f16_e64 v161, v181, v161
	v_add_f16_e32 v90, v112, v90
	v_add_f16_e64 v162, v177, v162
	v_add_f16_e64 v163, v182, v163
	v_add_f16_e32 v64, v121, v64
	v_bfi_b32 v121, 0xffff, v67, v154
	v_pk_add_f16 v114, v122, v114
	v_fma_f16 v122, 0x3b76, v152, v115
	v_pk_add_f16 v65, v71, v65
	v_fmamk_f16 v71, v81, 0xb5c8, v55
	v_fma_f16 v57, 0x39e9, v152, v116
	v_fma_f16 v69, 0xb964, v81, v153
	v_pk_add_f16 v19, v176, v23
	v_add_f16_e64 v23, v167, v53
	v_add_f16_e64 v51, v178, v51
	v_add_f16_e32 v33, v103, v33
	v_add_f16_e32 v25, v120, v25
	v_pk_add_f16 v5, v5, v13
	v_alignbit_b32 v118, s0, v132, 16
	v_add_f16_e32 v52, v56, v52
	v_add_f16_e32 v68, v68, v82
	;; [unrolled: 1-line block ×3, first 2 shown]
	v_add_f16_e64 v108, v183, v108
	v_add_f16_e64 v155, v188, v155
	;; [unrolled: 1-line block ×3, first 2 shown]
	v_add_f16_e32 v86, v124, v86
	v_add_f16_e64 v87, v129, v87
	v_add_f16_e64 v124, v185, v158
	;; [unrolled: 1-line block ×3, first 2 shown]
	v_pk_add_f16 v95, v132, v95
	v_add_f16_e32 v88, v125, v88
	v_add_f16_e64 v89, v130, v89
	v_add_f16_e64 v125, v186, v160
	;; [unrolled: 1-line block ×3, first 2 shown]
	v_add_f16_e32 v90, v126, v90
	v_add_f16_e64 v126, v187, v162
	v_add_f16_e64 v130, v192, v163
	v_pk_add_f16 v17, v121, v19
	v_add_f16_e32 v19, v122, v23
	v_add_f16_e32 v23, v71, v51
	;; [unrolled: 1-line block ×4, first 2 shown]
	v_pk_add_f16 v5, v5, v11
	v_mul_f16_e64 v165, 0xbbf7, v96
	v_mul_f16_e32 v101, 0xb5c8, v96
	v_mul_f16_e64 v166, 0xb1e1, v96
	v_mul_f16_e32 v96, 0x3964, v96
	v_mul_f16_e64 v170, 0x2de8, v97
	v_alignbit_b32 v175, s0, v142, 16
	v_add_f16_e32 v52, v59, v52
	v_add_f16_e32 v59, v70, v64
	v_pk_add_f16 v64, v118, v114
	v_add_f16_e32 v58, v72, v68
	v_add_f16_e64 v62, v137, v83
	v_add_f16_e64 v68, v193, v108
	;; [unrolled: 1-line block ×3, first 2 shown]
	v_mul_f16_e32 v54, 0x3b76, v97
	v_pk_add_f16 v65, v75, v65
	v_add_f16_e64 v73, v134, v86
	v_add_f16_e64 v75, v139, v87
	;; [unrolled: 1-line block ×4, first 2 shown]
	v_mul_f16_e32 v107, 0xbbdd, v97
	v_mul_f16_e32 v97, 0x39e9, v97
	v_pk_add_f16 v70, v142, v95
	v_add_f16_e64 v87, v135, v88
	v_add_f16_e64 v88, v140, v89
	;; [unrolled: 1-line block ×6, first 2 shown]
	v_pk_add_f16 v5, v5, v9
	v_pack_b32_f16 v9, v19, v23
	v_pack_b32_f16 v19, v33, v25
	v_pk_add_f16 v23, v94, v80
	v_bfi_b32 v25, 0xffff, v43, v42
	v_fma_f16 v156, v66, 0x3722, -v156
	v_fma_f16 v102, 0x2de8, v66, v165
	v_fma_f16 v165, v66, 0x2de8, -v165
	v_fma_f16 v100, v66, 0xb8d2, -v100
	v_fma_f16 v168, 0x3b76, v66, v101
	v_fma_f16 v101, v66, 0x3b76, -v101
	v_fma_f16 v169, 0xbbdd, v66, v166
	v_fma_f16 v166, v66, 0xbbdd, -v166
	v_fmamk_f16 v104, v66, 0x39e9, v96
	v_fma_f16 v96, v66, 0x39e9, -v96
	v_pk_mul_f16 v66, 0xb461, v66 op_sel_hi:[0,1]
	v_mul_f16_e64 v113, 0xb836, v164
	v_mul_f16_e32 v106, 0xbacd, v98
	v_fmac_f16_e32 v105, 0x3b29, v93
	v_fma_f16 v112, 0x3bf7, v93, v170
	v_add_f16_e32 v52, v61, v52
	v_pk_add_f16 v61, v175, v64
	v_add_f16_e32 v58, v76, v58
	v_add_f16_e64 v60, v147, v62
	v_add_f16_e64 v62, v203, v68
	v_add_f16_e64 v64, v208, v72
	v_mul_f16_e64 v172, 0xba62, v164
	v_mul_f16_e32 v109, 0xb8d2, v98
	v_fmac_f16_e64 v171, 0x3a62, v93
	v_fma_f16 v177, 0x35c8, v93, v54
	v_add_f16_e64 v91, v131, v91
	v_pk_add_f16 v21, v79, v65
	v_add_f16_e64 v65, v144, v73
	v_add_f16_e64 v68, v149, v75
	;; [unrolled: 1-line block ×4, first 2 shown]
	v_mul_f16_e64 v117, 0x3b29, v164
	v_mul_f16_e64 v173, 0x3722, v98
	v_mul_f16_e32 v98, 0xb461, v98
	v_fma_f16 v179, 0x31e1, v93, v107
	v_fmamk_f16 v56, v93, 0xb964, v97
	v_add_f16_e32 v59, v74, v59
	v_add_f16_e64 v74, v145, v87
	v_add_f16_e64 v76, v206, v89
	;; [unrolled: 1-line block ×5, first 2 shown]
	v_pk_add_f16 v23, v25, v23
	v_bfi_b32 v25, 0xffff, v45, v44
	v_pk_fma_f16 v164, 0xbbb2, v93, v66 op_sel:[0,0,1] op_sel_hi:[0,1,0]
	v_alignbit_b32 v119, s0, v50, 16
	v_fma_f16 v115, v152, 0x3b76, -v115
	v_fmac_f16_e32 v55, 0x35c8, v81
	v_fma_f16 v132, 0xbacd, v152, v113
	v_fmamk_f16 v110, v81, 0x3836, v106
	v_add_f16_e64 v53, v156, v58
	v_add_f16_e32 v58, v105, v60
	v_add_f16_e32 v60, v102, v62
	;; [unrolled: 1-line block ×3, first 2 shown]
	v_pk_add_f16 v5, v5, v7
	v_pk_mul_f16 v7, 0x2de8, v152 op_sel_hi:[0,1]
	v_fma_f16 v82, 0xb8d2, v152, v172
	v_fmamk_f16 v127, v81, 0x3a62, v109
	v_add_f16_e64 v90, v136, v90
	v_add_f16_e64 v91, v141, v91
	v_add_f16_e32 v52, v63, v52
	v_add_f16_e32 v63, v100, v65
	v_add_f16_e64 v64, v171, v68
	v_add_f16_e64 v65, v168, v72
	;; [unrolled: 1-line block ×3, first 2 shown]
	v_fma_f16 v116, v152, 0x39e9, -v116
	v_fma_f16 v31, v152, 0xb8d2, -v172
	v_fma_f16 v172, 0x3722, v152, v117
	v_fma_f16 v180, 0xbb29, v81, v173
	v_fmamk_f16 v123, v81, 0x3bb2, v98
	v_add_f16_e32 v72, v101, v74
	v_add_f16_e64 v73, v169, v76
	v_add_f16_e64 v74, v179, v77
	v_add_f16_e32 v77, v104, v86
	v_add_f16_e32 v56, v56, v87
	v_add_f16_e64 v29, v133, v29
	v_add_f16_e64 v35, v138, v35
	v_pk_add_f16 v23, v25, v23
	v_bfi_b32 v25, 0xffff, v47, v46
	v_alignbit_b32 v99, s0, v164, 16
	v_pk_add_f16 v61, v119, v61
	v_add_f16_e32 v51, v115, v53
	v_add_f16_e32 v53, v55, v58
	v_add_f16_e64 v55, v132, v60
	v_add_f16_e32 v58, v110, v62
	v_pk_add_f16 v33, v50, v70
	v_pk_fma_f16 v42, 0xbbb2, v93, v66 op_sel:[0,0,1] op_sel_hi:[0,1,0] neg_lo:[0,1,0] neg_hi:[0,1,0]
	v_pk_fma_f16 v50, 0x3bf7, v81, v7 op_sel:[0,0,1] op_sel_hi:[0,1,0]
	v_fmac_f16_e32 v54, 0xb5c8, v93
	v_fmac_f16_e32 v107, 0xb1e1, v93
	;; [unrolled: 1-line block ×3, first 2 shown]
	v_add_f16_e64 v75, v150, v88
	v_add_f16_e64 v79, v146, v90
	;; [unrolled: 1-line block ×3, first 2 shown]
	v_add_f16_e32 v59, v78, v59
	v_add_f16_e32 v62, v82, v65
	;; [unrolled: 1-line block ×4, first 2 shown]
	v_add_f16_e64 v63, v172, v73
	v_add_f16_e64 v13, v180, v74
	v_add_f16_e32 v68, v84, v77
	v_add_f16_e32 v11, v123, v56
	v_fmac_f16_e64 v170, 0xbbf7, v93
	v_add_f16_e64 v29, v143, v29
	v_add_f16_e64 v35, v148, v35
	v_pk_add_f16 v23, v25, v23
	v_bfi_b32 v25, 0xffff, v49, v48
	v_pack_b32_f16 v55, v55, v58
	v_pk_add_f16 v43, v99, v61
	v_pk_add_f16 v21, v42, v21
	v_pk_add_f16 v33, v164, v33
	v_alignbit_b32 v42, s0, v50, 16
	v_pk_fma_f16 v7, 0x3bf7, v81, v7 op_sel:[0,0,1] op_sel_hi:[0,1,0] neg_lo:[0,1,0] neg_hi:[0,1,0]
	v_fmac_f16_e64 v153, 0x3964, v81
	v_fma_f16 v117, v152, 0x3722, -v117
	v_fmac_f16_e64 v173, 0x3b29, v81
	v_fmac_f16_e32 v98, 0xbbb2, v81
	v_add_f16_e32 v54, v54, v75
	v_add_f16_e64 v75, v166, v79
	v_add_f16_e32 v76, v107, v83
	v_add_f16_e32 v52, v96, v52
	;; [unrolled: 1-line block ×3, first 2 shown]
	v_pack_b32_f16 v15, v62, v15
	v_fmac_f16_e32 v109, 0xba62, v81
	v_pack_b32_f16 v11, v68, v11
	v_pack_b32_f16 v13, v63, v13
	v_fma_f16 v113, v152, 0xbacd, -v113
	v_fmac_f16_e32 v106, 0xb836, v81
	v_add_f16_e64 v29, v165, v29
	v_add_f16_e64 v35, v170, v35
	global_inv scope:SCOPE_SE
	ds_store_2addr_b32 v41, v5, v17 offset1:1
	ds_store_2addr_b32 v41, v9, v55 offset0:2 offset1:3
	ds_store_2addr_b32 v41, v19, v15 offset0:4 offset1:5
	;; [unrolled: 1-line block ×3, first 2 shown]
	v_pk_add_f16 v5, v25, v23
	v_bfi_b32 v9, 0xffff, v92, v85
	v_pk_add_f16 v42, v42, v43
	v_pk_add_f16 v7, v7, v21
	;; [unrolled: 1-line block ×3, first 2 shown]
	v_add_f16_e64 v60, v153, v64
	v_add_f16_e32 v64, v117, v75
	v_add_f16_e64 v65, v173, v76
	v_add_f16_e32 v27, v27, v52
	v_add_f16_e32 v52, v98, v59
	;; [unrolled: 1-line block ×6, first 2 shown]
	v_pk_add_f16 v5, v9, v5
	v_bfi_b32 v9, 0xffff, v154, v67
	v_alignbit_b32 v11, v21, v7, 16
	v_pack_b32_f16 v7, v42, v7
	v_pack_b32_f16 v13, v64, v65
	;; [unrolled: 1-line block ×7, first 2 shown]
	v_pk_add_f16 v5, v9, v5
	ds_store_2addr_b32 v41, v7, v11 offset0:8 offset1:9
	ds_store_2addr_b32 v41, v15, v13 offset0:10 offset1:11
	;; [unrolled: 1-line block ×4, first 2 shown]
	ds_store_b32 v41, v5 offset:64
	v_cmpx_gt_u32_e32 7, v0
	s_cbranch_execz .LBB0_18
; %bb.17:
	v_pk_add_f16 v5, v4, v34
	v_pk_add_f16 v31, v10, v28
	v_pk_add_f16 v17, v28, v10 neg_lo:[0,1] neg_hi:[0,1]
	v_pk_add_f16 v35, v40, v34
	v_pk_add_f16 v27, v14, v24
	;; [unrolled: 1-line block ×3, first 2 shown]
	v_pk_add_f16 v9, v24, v14 neg_lo:[0,1] neg_hi:[0,1]
	v_pk_add_f16 v33, v6, v32
	v_pk_add_f16 v25, v16, v22
	v_pk_add_f16 v7, v22, v16 neg_lo:[0,1] neg_hi:[0,1]
	v_pk_add_f16 v5, v5, v30
	v_lshrrev_b32_e32 v45, 16, v35
	v_pk_add_f16 v23, v34, v40 neg_lo:[0,1] neg_hi:[0,1]
	v_pk_add_f16 v21, v32, v6 neg_lo:[0,1] neg_hi:[0,1]
	v_pk_add_f16 v32, v8, v30
	v_pk_add_f16 v5, v5, v28
	;; [unrolled: 1-line block ×3, first 2 shown]
	v_lshrrev_b32_e32 v49, 16, v33
	v_mul_f16_e32 v69, 0xbacd, v45
	v_pk_add_f16 v29, v12, v26
	v_pk_add_f16 v28, v5, v26
	v_pk_add_f16 v5, v20, v18 neg_lo:[0,1] neg_hi:[0,1]
	v_pk_add_f16 v11, v26, v12 neg_lo:[0,1] neg_hi:[0,1]
	v_lshrrev_b32_e32 v26, 16, v4
	v_lshrrev_b32_e32 v50, 16, v32
	v_pk_add_f16 v24, v28, v24
	v_mul_f16_e32 v66, 0x3722, v49
	v_pk_add_f16 v19, v30, v8 neg_lo:[0,1] neg_hi:[0,1]
	v_lshrrev_b32_e32 v53, 16, v31
	v_mul_f16_e32 v43, 0x2de8, v50
	v_pk_add_f16 v22, v24, v22
	v_lshrrev_b32_e32 v55, 16, v29
	v_lshrrev_b32_e32 v63, 16, v23
	v_mul_f16_e32 v41, 0xb8d2, v53
	v_lshrrev_b32_e32 v59, 16, v27
	v_pk_add_f16 v20, v22, v20
	v_lshrrev_b32_e32 v65, 16, v21
	v_mul_f16_e32 v30, 0x3b76, v55
	v_mul_f16_e32 v54, 0xb836, v63
	v_lshrrev_b32_e32 v60, 16, v25
	v_pk_add_f16 v18, v20, v18
	v_fmamk_f16 v20, v23, 0x3836, v69
	v_lshrrev_b32_e32 v68, 16, v19
	v_mul_f16_e32 v28, 0xbbdd, v59
	v_mul_f16_e32 v48, 0x3b29, v65
	v_pk_add_f16 v16, v18, v16
	v_fmamk_f16 v18, v21, 0xbb29, v66
	v_add_f16_e32 v20, v26, v20
	v_lshrrev_b32_e32 v62, 16, v13
	v_lshrrev_b32_e32 v86, 16, v17
	v_pk_add_f16 v14, v16, v14
	v_fmamk_f16 v16, v19, 0x3bf7, v43
	v_add_f16_e32 v18, v18, v20
	v_mul_f16_e32 v24, 0x39e9, v60
	v_mul_f16_e32 v47, 0xbbf7, v68
	v_pk_add_f16 v12, v14, v12
	v_fmamk_f16 v14, v17, 0xba62, v41
	v_add_f16_e32 v16, v16, v18
	v_fmamk_f16 v18, v35, 0xbacd, v54
	v_mul_f16_e32 v42, 0x3a62, v86
	v_pk_add_f16 v10, v12, v10
	v_fmamk_f16 v12, v11, 0x35c8, v30
	v_add_f16_e32 v14, v14, v16
	v_fmamk_f16 v16, v33, 0x3722, v48
	v_add_f16_e32 v18, v4, v18
	v_pk_add_f16 v8, v10, v8
	v_fmamk_f16 v10, v9, 0x31e1, v28
	v_add_f16_e32 v12, v12, v14
	v_lshrrev_b32_e32 v88, 16, v11
	v_add_f16_e32 v14, v16, v18
	v_pk_add_f16 v6, v8, v6
	v_fmamk_f16 v8, v32, 0x2de8, v47
	v_add_f16_e32 v10, v10, v12
	v_fmamk_f16 v12, v7, 0xb964, v24
	v_mul_f16_e32 v34, 0xb461, v62
	v_mul_f16_e32 v44, 0xb5c8, v88
	v_add_f16_e32 v8, v8, v14
	v_fmamk_f16 v14, v31, 0xb8d2, v42
	v_add_f16_e32 v10, v12, v10
	v_fmamk_f16 v12, v5, 0x3bb2, v34
	v_lshrrev_b32_e32 v90, 16, v9
	v_mul_f16_e32 v73, 0xb8d2, v45
	v_add_f16_e32 v14, v14, v8
	v_fmamk_f16 v16, v29, 0x3b76, v44
	v_add_f16_e32 v8, v12, v10
	v_mul_f16_e32 v61, 0xb1e1, v90
	v_lshrrev_b32_e32 v91, 16, v7
	v_fmamk_f16 v12, v23, 0x3a62, v73
	v_mul_f16_e32 v74, 0xb461, v49
	v_pk_add_f16 v6, v6, v40
	v_add_f16_e32 v10, v16, v14
	v_fmamk_f16 v14, v27, 0xbbdd, v61
	v_mul_f16_e32 v40, 0x3964, v91
	v_lshrrev_b32_e32 v92, 16, v5
	v_add_f16_e32 v12, v26, v12
	v_fmamk_f16 v16, v21, 0xbbb2, v74
	v_mul_f16_e32 v51, 0x3b76, v50
	v_add_f16_e32 v10, v14, v10
	v_fmamk_f16 v14, v25, 0x39e9, v40
	v_mul_f16_e32 v46, 0xbbb2, v92
	;; [unrolled: 3-line block ×55, first 2 shown]
	v_add_f16_e32 v84, v4, v84
	v_fmamk_f16 v127, v33, 0xb8d2, v126
	v_mul_f16_e64 v128, 0x31e1, v68
	v_add_f16_e32 v89, v119, v89
	v_fmamk_f16 v119, v9, 0x35c8, v124
	v_mul_f16_e64 v129, 0x2de8, v60
	v_add_f16_e32 v127, v127, v84
	v_fma_f16 v130, 0xbbdd, v32, v128
	v_mul_f16_e64 v131, 0x3bb2, v86
	v_add_f16_e32 v89, v119, v89
	v_fma_f16 v119, 0x3bf7, v7, v129
	v_mul_f16_e32 v84, 0xbacd, v62
	v_add_f16_e64 v127, v130, v127
	v_fma_f16 v130, 0xb461, v31, v131
	v_mul_f16_e64 v132, 0x3964, v88
	v_add_f16_e32 v89, v119, v89
	v_fmamk_f16 v119, v5, 0x3836, v84
	v_mul_f16_e64 v133, 0x39e9, v45
	v_add_f16_e64 v127, v130, v127
	v_fma_f16 v130, 0x39e9, v29, v132
	v_mul_f16_e64 v134, 0xb5c8, v90
	v_add_f16_e32 v45, v119, v89
	v_fma_f16 v89, 0x3964, v23, v133
	v_mul_f16_e32 v119, 0x2de8, v49
	v_add_f16_e64 v49, v130, v127
	v_fma_f16 v127, 0x3b76, v27, v134
	v_mul_f16_e64 v130, 0xbbf7, v91
	v_add_f16_e32 v89, v26, v89
	v_fma_f16 v135, 0x3bf7, v21, v119
	v_mul_f16_e64 v136, 0xb8d2, v50
	v_add_f16_e32 v49, v127, v49
	v_fma_f16 v50, 0x2de8, v25, v130
	v_mul_f16_e32 v127, 0xb836, v92
	v_add_f16_e64 v89, v135, v89
	v_fma_f16 v135, 0x3a62, v19, v136
	v_mul_f16_e64 v137, 0xbbdd, v53
	v_add_f16_e32 v49, v50, v49
	v_fmamk_f16 v50, v13, 0xbacd, v127
	v_mul_f16_e64 v138, 0xb964, v63
	v_add_f16_e64 v53, v135, v89
	v_fma_f16 v63, 0x31e1, v17, v137
	v_mul_f16_e64 v135, 0xbacd, v55
	v_add_f16_e32 v89, v50, v49
	v_fma_f16 v49, 0x39e9, v35, v138
	v_mul_f16_e64 v139, 0xbbf7, v65
	v_add_f16_e32 v50, v63, v53
	v_fma_f16 v53, 0xb836, v11, v135
	v_mul_f16_e64 v140, 0xb461, v59
	v_add_f16_e32 v49, v4, v49
	v_fma_f16 v55, 0x2de8, v33, v139
	v_mul_f16_e64 v141, 0xba62, v68
	v_add_f16_e32 v50, v53, v50
	v_fma_f16 v53, 0xbbb2, v9, v140
	v_mul_f16_e64 v142, 0x3722, v60
	v_add_f16_e32 v49, v55, v49
	v_fma_f16 v55, 0xb8d2, v32, v141
	v_mul_f16_e64 v143, 0xb1e1, v86
	v_add_f16_e32 v50, v53, v50
	v_fma_f16 v53, 0xbb29, v7, v142
	v_mul_f16_e64 v144, 0x3b76, v62
	v_add_f16_e32 v49, v55, v49
	v_fma_f16 v55, 0xbbdd, v31, v143
	v_mul_f16_e64 v145, 0x3836, v88
	v_add_f16_e32 v53, v53, v50
	v_pk_mul_f16 v50, 0xb5c8, v23 op_sel_hi:[0,1]
	v_fma_f16 v59, 0xb5c8, v5, v144
	v_add_f16_e32 v55, v55, v49
	v_fma_f16 v60, 0xbacd, v29, v145
	v_mul_f16_e64 v146, 0x3bb2, v90
	v_pk_fma_f16 v49, 0x3b76, v35, v50 op_sel:[0,0,1] op_sel_hi:[0,1,0]
	v_pk_fma_f16 v50, 0x3b76, v35, v50 op_sel:[0,0,1] op_sel_hi:[0,1,0] neg_lo:[0,0,1] neg_hi:[0,0,1]
	v_pk_mul_f16 v62, 0xb964, v21 op_sel_hi:[0,1]
	v_add_f16_e64 v147, v59, v53
	v_add_f16_e32 v59, v60, v55
	v_fma_f16 v60, 0xb461, v27, v146
	v_bfi_b32 v63, 0xffff, v49, v50
	v_pk_fma_f16 v53, 0x39e9, v33, v62 op_sel:[0,0,1] op_sel_hi:[0,1,0]
	v_pk_fma_f16 v55, 0x39e9, v33, v62 op_sel:[0,0,1] op_sel_hi:[0,1,0] neg_lo:[0,0,1] neg_hi:[0,0,1]
	v_pk_mul_f16 v62, 0xbb29, v19 op_sel_hi:[0,1]
	v_add_f16_e32 v65, v60, v59
	v_mul_f16_e32 v91, 0x3b29, v91
	v_pk_add_f16 v63, v4, v63
	v_bfi_b32 v68, 0xffff, v53, v55
	v_pk_fma_f16 v59, 0x3722, v32, v62 op_sel:[0,0,1] op_sel_hi:[0,1,0]
	v_pk_fma_f16 v60, 0x3722, v32, v62 op_sel:[0,0,1] op_sel_hi:[0,1,0] neg_lo:[0,0,1] neg_hi:[0,0,1]
	v_pk_mul_f16 v86, 0xbbf7, v17 op_sel_hi:[0,1]
	v_fmamk_f16 v88, v25, 0x3722, v91
	v_mul_f16_e32 v92, 0x35c8, v92
	v_pk_add_f16 v68, v68, v63
	v_bfi_b32 v90, 0xffff, v59, v60
	v_pk_fma_f16 v62, 0x2de8, v31, v86 op_sel:[0,0,1] op_sel_hi:[0,1,0]
	v_pk_fma_f16 v63, 0x2de8, v31, v86 op_sel:[0,0,1] op_sel_hi:[0,1,0] neg_lo:[0,0,1] neg_hi:[0,0,1]
	v_pk_mul_f16 v86, 0xbbb2, v11 op_sel_hi:[0,1]
	v_fmac_f16_e32 v69, 0xb836, v23
	v_add_f16_e32 v88, v88, v65
	v_fma_f16 v148, 0x3b76, v13, v92
	v_pk_add_f16 v90, v90, v68
	v_bfi_b32 v149, 0xffff, v62, v63
	v_pk_fma_f16 v65, 0xb461, v29, v86 op_sel:[0,0,1] op_sel_hi:[0,1,0]
	v_pk_fma_f16 v68, 0xb461, v29, v86 op_sel:[0,0,1] op_sel_hi:[0,1,0] neg_lo:[0,0,1] neg_hi:[0,0,1]
	v_pk_mul_f16 v150, 0xba62, v9 op_sel_hi:[0,1]
	v_add_f16_e64 v151, v26, v69
	v_fmac_f16_e32 v66, 0x3b29, v21
	v_add_f16_e64 v148, v148, v88
	v_pk_add_f16 v90, v149, v90
	v_bfi_b32 v149, 0xffff, v65, v68
	v_pk_fma_f16 v86, 0xb8d2, v27, v150 op_sel:[0,0,1] op_sel_hi:[0,1,0]
	v_pk_fma_f16 v88, 0xb8d2, v27, v150 op_sel:[0,0,1] op_sel_hi:[0,1,0] neg_lo:[0,0,1] neg_hi:[0,0,1]
	v_pk_mul_f16 v150, 0xb836, v7 op_sel_hi:[0,1]
	v_add_f16_e64 v66, v66, v151
	v_fmac_f16_e32 v43, 0xbbf7, v19
	v_pk_add_f16 v149, v149, v90
	v_bfi_b32 v152, 0xffff, v86, v88
	v_pk_fma_f16 v69, 0xbacd, v25, v150 op_sel:[0,0,1] op_sel_hi:[0,1,0]
	v_pk_fma_f16 v90, 0xbacd, v25, v150 op_sel:[0,0,1] op_sel_hi:[0,1,0] neg_lo:[0,0,1] neg_hi:[0,0,1]
	v_pk_mul_f16 v150, 0xb1e1, v5 op_sel_hi:[0,1]
	v_fma_f16 v54, v35, 0xbacd, -v54
	v_add_f16_e32 v43, v43, v66
	v_fmac_f16_e32 v41, 0x3a62, v17
	v_pk_add_f16 v149, v152, v149
	v_bfi_b32 v151, 0xffff, v69, v90
	v_pk_fma_f16 v66, 0xbbdd, v13, v150 op_sel:[0,0,1] op_sel_hi:[0,1,0]
	v_pk_fma_f16 v150, 0xbbdd, v13, v150 op_sel:[0,0,1] op_sel_hi:[0,1,0] neg_lo:[0,0,1] neg_hi:[0,0,1]
	v_add_f16_e32 v54, v4, v54
	v_fma_f16 v48, v33, 0x3722, -v48
	v_add_f16_e32 v41, v41, v43
	v_fmac_f16_e32 v30, 0xb5c8, v11
	v_pk_add_f16 v43, v151, v149
	v_bfi_b32 v149, 0xffff, v66, v150
	v_add_f16_e32 v48, v48, v54
	v_fma_f16 v47, v32, 0x2de8, -v47
	v_add_f16_e32 v30, v30, v41
	v_fmac_f16_e32 v28, 0xb1e1, v9
	v_pk_add_f16 v41, v149, v43
	v_fmac_f16_e32 v73, 0xba62, v23
	v_add_f16_e32 v43, v47, v48
	v_fma_f16 v42, v31, 0xb8d2, -v42
	v_add_f16_e32 v28, v28, v30
	v_fmac_f16_e32 v24, 0x3964, v7
	v_add_f16_e32 v30, v26, v73
	v_fmac_f16_e32 v74, 0x3bb2, v21
	v_add_f16_e32 v42, v42, v43
	v_fma_f16 v43, v29, 0x3b76, -v44
	v_add_f16_e32 v24, v24, v28
	v_fmac_f16_e32 v34, 0xbbb2, v5
	v_add_f16_e32 v28, v74, v30
	v_fma_f16 v40, v25, 0x39e9, -v40
	v_add_f16_e32 v30, v43, v42
	v_fma_f16 v42, v27, 0xbbdd, -v61
	;; [unrolled: 2-line block ×3, first 2 shown]
	v_fma_f16 v43, v35, 0xb461, -v95
	v_fma_f16 v44, v33, 0xbacd, -v97
	v_add_f16_e32 v30, v42, v30
	v_fma_f16 v42, v33, 0xb461, -v81
	v_add_f16_e32 v34, v4, v34
	v_add_f16_e32 v43, v4, v43
	v_fma_f16 v47, v33, 0xbbdd, -v108
	v_add_f16_e32 v30, v40, v30
	v_fma_f16 v40, v13, 0xb461, -v46
	;; [unrolled: 2-line block ×6, first 2 shown]
	v_fmac_f16_e32 v51, 0xb5c8, v19
	v_fma_f16 v48, v35, 0x3722, -v123
	v_fmac_f16_e32 v52, 0xb836, v17
	v_add_f16_e32 v34, v40, v34
	v_fma_f16 v40, v29, 0x2de8, -v72
	v_add_f16_e32 v46, v4, v46
	v_add_f16_e32 v28, v51, v28
	;; [unrolled: 1-line block ×3, first 2 shown]
	v_fma_f16 v51, v33, 0xb8d2, -v126
	v_add_f16_e32 v34, v40, v34
	v_fma_f16 v40, v27, 0x39e9, -v82
	v_add_f16_e32 v46, v47, v46
	;; [unrolled: 2-line block ×5, first 2 shown]
	v_fma_f16 v52, v27, 0x3b76, -v134
	v_fmac_f16_e32 v70, 0x3bf7, v11
	v_fmac_f16_e32 v56, 0xb964, v9
	v_add_f16_e32 v34, v40, v34
	v_fma_f16 v40, v13, 0x3722, -v67
	v_fmac_f16_e32 v57, 0xb1e1, v7
	v_add_f16_e32 v28, v70, v28
	v_fmac_f16_e32 v93, 0xbbb2, v23
	v_fmac_f16_e32 v101, 0xbbf7, v23
	v_add_f16_e32 v34, v40, v34
	v_add_f16_e32 v40, v44, v43
	v_fma_f16 v43, v31, 0x3722, -v99
	v_add_f16_e32 v28, v56, v28
	v_fmac_f16_e32 v115, 0xbb29, v23
	v_fmac_f16_e64 v133, 0xb964, v23
	v_fmac_f16_e32 v94, 0x3836, v21
	v_add_f16_e32 v40, v43, v40
	v_fma_f16 v43, v29, 0xbbdd, -v100
	v_add_f16_e32 v28, v57, v28
	v_fmac_f16_e32 v103, 0xb1e1, v21
	v_fmac_f16_e32 v118, 0xba62, v21
	;; [unrolled: 1-line block ×3, first 2 shown]
	v_add_f16_e32 v40, v43, v40
	v_fma_f16 v43, v27, 0x2de8, -v102
	v_pack_b32_f16 v16, v18, v16
	v_fmac_f16_e32 v75, 0x3964, v19
	v_fmac_f16_e32 v104, 0x3bb2, v19
	;; [unrolled: 1-line block ×3, first 2 shown]
	v_add_f16_e32 v40, v43, v40
	v_fma_f16 v43, v25, 0x3b76, -v85
	v_fmac_f16_e64 v136, 0xba62, v19
	v_add_f16_e32 v42, v26, v93
	v_add_f16_e32 v44, v26, v101
	v_fmac_f16_e32 v76, 0xbb29, v17
	v_add_f16_e32 v40, v43, v40
	v_fma_f16 v43, v13, 0xb8d2, -v87
	v_fmac_f16_e32 v105, 0x35c8, v17
	v_fmac_f16_e32 v122, 0x3bb2, v17
	v_fmac_f16_e64 v137, 0xb1e1, v17
	v_pack_b32_f16 v8, v12, v8
	v_add_f16_e32 v40, v43, v40
	v_add_f16_e32 v43, v47, v46
	v_fma_f16 v46, v31, 0x3b76, -v112
	v_add_f16_e32 v47, v26, v115
	v_add_f16_e64 v26, v26, v133
	v_bfi_b32 v12, 0xffff, v50, v49
	v_add_f16_e32 v42, v94, v42
	v_add_f16_e32 v43, v46, v43
	v_fma_f16 v46, v29, 0x3722, -v114
	v_add_f16_e32 v44, v103, v44
	v_add_f16_e32 v47, v118, v47
	v_add_f16_e32 v26, v119, v26
	v_fmac_f16_e32 v96, 0xb1e1, v11
	v_add_f16_e32 v43, v46, v43
	v_fma_f16 v46, v27, 0xbacd, -v117
	v_fmac_f16_e32 v107, 0xbb29, v11
	v_fmac_f16_e32 v125, 0x3964, v11
	v_fmac_f16_e64 v135, 0x3836, v11
	v_pack_b32_f16 v20, v22, v20
	v_add_f16_e32 v43, v46, v43
	v_fma_f16 v46, v25, 0xb8d2, -v116
	v_add_f16_e32 v42, v75, v42
	v_add_f16_e32 v44, v104, v44
	;; [unrolled: 1-line block ×3, first 2 shown]
	v_add_f16_e64 v26, v136, v26
	v_add_f16_e32 v43, v46, v43
	v_fma_f16 v46, v13, 0x39e9, -v121
	v_fmac_f16_e32 v58, 0x3b29, v5
	v_fmac_f16_e32 v77, 0x3bf7, v9
	;; [unrolled: 1-line block ×4, first 2 shown]
	v_add_f16_e32 v43, v46, v43
	v_add_f16_e32 v46, v51, v48
	v_fma_f16 v48, v31, 0xb461, -v131
	v_fma_f16 v51, v35, 0x39e9, -v138
	v_pk_mul_f16 v35, 0xbbdd, v35 op_sel_hi:[0,1]
	v_fmac_f16_e64 v140, 0x3bb2, v9
	v_add_f16_e32 v42, v76, v42
	v_add_f16_e32 v46, v48, v46
	v_fma_f16 v48, v29, 0x39e9, -v132
	v_add_f16_e32 v44, v105, v44
	v_add_f16_e32 v47, v122, v47
	v_add_f16_e64 v26, v137, v26
	v_add_nc_u32_e32 v15, 17, v0
	v_add_f16_e32 v46, v48, v46
	v_add_f16_e32 v48, v4, v51
	v_fma_f16 v51, v33, 0x2de8, -v139
	v_pk_mul_f16 v33, 0x3b76, v33 op_sel_hi:[0,1]
	v_add_f16_e32 v28, v58, v28
	v_add_f16_e32 v46, v52, v46
	v_fma_f16 v52, v25, 0x2de8, -v130
	v_add_f16_e32 v48, v51, v48
	v_fma_f16 v51, v32, 0xb8d2, -v141
	v_pk_fma_f16 v56, 0x35c8, v21, v33 op_sel:[0,0,1] op_sel_hi:[0,1,0]
	v_pk_mul_f16 v32, 0xbacd, v32 op_sel_hi:[0,1]
	v_add_f16_e32 v46, v52, v46
	v_fma_f16 v52, v13, 0xbacd, -v127
	v_add_f16_e32 v48, v51, v48
	v_fma_f16 v51, v31, 0xbbdd, -v143
	v_pk_fma_f16 v57, 0xb836, v19, v32 op_sel:[0,0,1] op_sel_hi:[0,1,0]
	v_pk_mul_f16 v31, 0x39e9, v31 op_sel_hi:[0,1]
	v_add_f16_e32 v46, v52, v46
	v_pk_fma_f16 v52, 0xb1e1, v23, v35 op_sel:[0,0,1] op_sel_hi:[0,1,0]
	v_add_f16_e32 v48, v51, v48
	v_fma_f16 v51, v29, 0xbacd, -v145
	v_pk_fma_f16 v61, 0x3964, v17, v31 op_sel:[0,0,1] op_sel_hi:[0,1,0]
	v_pk_fma_f16 v23, 0xb1e1, v23, v35 op_sel:[0,0,1] op_sel_hi:[0,1,0] neg_lo:[0,1,0] neg_hi:[0,1,0]
	v_alignbit_b32 v54, s0, v52, 16
	v_pk_mul_f16 v29, 0xb8d2, v29 op_sel_hi:[0,1]
	v_add_f16_e32 v48, v51, v48
	v_fma_f16 v51, v27, 0xb461, -v146
	v_pk_add_f16 v23, v4, v23 op_sel:[1,0] op_sel_hi:[0,1]
	v_pk_fma_f16 v21, 0x35c8, v21, v33 op_sel:[0,0,1] op_sel_hi:[0,1,0] neg_lo:[0,1,0] neg_hi:[0,1,0]
	v_pk_fma_f16 v18, 0xba62, v11, v29 op_sel:[0,0,1] op_sel_hi:[0,1,0]
	v_pk_mul_f16 v27, 0x3722, v27 op_sel_hi:[0,1]
	v_add_f16_e32 v48, v51, v48
	v_fma_f16 v51, v25, 0x3722, -v91
	v_pk_add_f16 v21, v21, v23
	v_pk_fma_f16 v19, 0xb836, v19, v32 op_sel:[0,0,1] op_sel_hi:[0,1,0] neg_lo:[0,1,0] neg_hi:[0,1,0]
	v_alignbit_b32 v35, s0, v18, 16
	v_pk_fma_f16 v64, 0x3b29, v9, v27 op_sel:[0,0,1] op_sel_hi:[0,1,0]
	v_add_f16_e32 v48, v51, v48
	v_pk_add_f16 v51, v4, v54
	v_alignbit_b32 v54, s0, v56, 16
	v_pk_mul_f16 v25, 0xb461, v25 op_sel_hi:[0,1]
	v_pk_add_f16 v19, v19, v21
	v_pk_fma_f16 v17, 0x3964, v17, v31 op_sel:[0,0,1] op_sel_hi:[0,1,0] neg_lo:[0,1,0] neg_hi:[0,1,0]
	v_pk_fma_f16 v11, 0xba62, v11, v29 op_sel:[0,0,1] op_sel_hi:[0,1,0] neg_lo:[0,1,0] neg_hi:[0,1,0]
	v_pk_add_f16 v51, v54, v51
	v_alignbit_b32 v54, s0, v57, 16
	v_pk_fma_f16 v9, 0x3b29, v9, v27 op_sel:[0,0,1] op_sel_hi:[0,1,0] neg_lo:[0,1,0] neg_hi:[0,1,0]
	v_pk_add_f16 v17, v17, v19
	v_fmac_f16_e32 v78, 0xb5c8, v7
	v_fmac_f16_e32 v111, 0x3a62, v7
	v_pk_add_f16 v51, v54, v51
	v_alignbit_b32 v54, s0, v61, 16
	v_pk_add_f16 v11, v11, v17
	v_fmac_f16_e64 v129, 0xbbf7, v7
	v_fmac_f16_e64 v142, 0x3b29, v7
	v_fma_f16 v58, v13, 0x3b76, -v92
	v_pk_add_f16 v51, v54, v51
	v_alignbit_b32 v54, s0, v4, 16
	v_pk_add_f16 v4, v4, v12
	v_bfi_b32 v12, 0xffff, v55, v53
	v_pk_mul_f16 v13, 0x2de8, v13 op_sel_hi:[0,1]
	v_pk_add_f16 v33, v35, v51
	v_pk_add_f16 v52, v54, v52
	v_alignbit_b32 v35, s0, v64, 16
	v_pk_fma_f16 v51, 0xbbb2, v7, v25 op_sel:[0,0,1] op_sel_hi:[0,1,0]
	v_pk_add_f16 v4, v12, v4
	v_bfi_b32 v12, 0xffff, v60, v59
	v_pk_add_f16 v52, v56, v52
	v_pk_add_f16 v22, v35, v33
	v_alignbit_b32 v23, s0, v51, 16
	v_pk_add_f16 v9, v9, v11
	v_pk_fma_f16 v7, 0xbbb2, v7, v25 op_sel:[0,0,1] op_sel_hi:[0,1,0] neg_lo:[0,1,0] neg_hi:[0,1,0]
	v_pk_add_f16 v32, v57, v52
	v_pk_add_f16 v4, v12, v4
	v_pk_add_f16 v21, v23, v22
	v_bfi_b32 v11, 0xffff, v63, v62
	v_add_f16_e32 v42, v96, v42
	v_pk_add_f16 v22, v61, v32
	v_add_f16_e32 v44, v107, v44
	v_add_f16_e32 v47, v125, v47
	v_add_f16_e64 v26, v135, v26
	v_mul_u32_u24_e32 v15, 0x44, v15
	v_pk_add_f16 v18, v18, v22
	v_fmac_f16_e32 v79, 0xba62, v5
	v_fmac_f16_e32 v113, 0x3964, v5
	;; [unrolled: 1-line block ×3, first 2 shown]
	v_fmac_f16_e64 v144, 0x35c8, v5
	v_pk_fma_f16 v17, 0x3bf7, v5, v13 op_sel:[0,0,1] op_sel_hi:[0,1,0]
	v_pk_add_f16 v7, v7, v9
	v_pk_fma_f16 v5, 0x3bf7, v5, v13 op_sel:[0,0,1] op_sel_hi:[0,1,0] neg_lo:[0,1,0] neg_hi:[0,1,0]
	v_pk_add_f16 v4, v11, v4
	v_bfi_b32 v9, 0xffff, v68, v65
	v_pk_add_f16 v18, v64, v18
	v_add_f16_e32 v42, v77, v42
	v_add_f16_e32 v44, v109, v44
	;; [unrolled: 1-line block ×3, first 2 shown]
	v_add_f16_e64 v26, v140, v26
	v_add3_u32 v15, 0, v15, v38
	v_pk_add_f16 v5, v5, v7
	v_pk_add_f16 v4, v9, v4
	v_bfi_b32 v7, 0xffff, v88, v86
	v_add_f16_e32 v48, v58, v48
	v_pack_b32_f16 v45, v89, v45
	v_pack_b32_f16 v58, v148, v147
	v_alignbit_b32 v12, s0, v17, 16
	v_pk_add_f16 v18, v51, v18
	v_add_f16_e32 v42, v78, v42
	v_add_f16_e32 v44, v111, v44
	v_pack_b32_f16 v10, v14, v10
	v_add_f16_e64 v47, v129, v47
	v_add_f16_e64 v26, v142, v26
	ds_store_2addr_b32 v15, v6, v41 offset1:1
	ds_store_2addr_b32 v15, v58, v45 offset0:2 offset1:3
	ds_store_2addr_b32 v15, v20, v16 offset0:4 offset1:5
	;; [unrolled: 1-line block ×3, first 2 shown]
	v_pk_add_f16 v4, v7, v4
	v_bfi_b32 v6, 0xffff, v90, v69
	v_pk_add_f16 v11, v12, v21
	v_pk_add_f16 v12, v17, v18
	v_add_f16_e32 v42, v79, v42
	v_add_f16_e32 v44, v113, v44
	;; [unrolled: 1-line block ×3, first 2 shown]
	v_add_f16_e64 v26, v144, v26
	v_pk_add_f16 v4, v6, v4
	v_bfi_b32 v6, 0xffff, v150, v66
	v_alignbit_b32 v7, v12, v5, 16
	v_pack_b32_f16 v5, v11, v5
	v_pack_b32_f16 v8, v34, v28
	;; [unrolled: 1-line block ×7, first 2 shown]
	v_pk_add_f16 v4, v6, v4
	ds_store_2addr_b32 v15, v5, v7 offset0:8 offset1:9
	ds_store_2addr_b32 v15, v9, v8 offset0:10 offset1:11
	;; [unrolled: 1-line block ×4, first 2 shown]
	ds_store_b32 v15, v4 offset:64
.LBB0_18:
	s_wait_alu 0xfffe
	s_or_b32 exec_lo, exec_lo, s1
	v_dual_mov_b32 v5, 0 :: v_dual_lshlrev_b32 v4, 1, v0
	v_add_nc_u16 v8, v0, 51
	v_add_nc_u16 v9, v0, 0x44
	global_wb scope:SCOPE_SE
	s_wait_dscnt 0x0
	s_barrier_signal -1
	v_lshlrev_b64_e32 v[6:7], 2, v[4:5]
	v_add_nc_u16 v4, v0, 34
	s_barrier_wait -1
	global_inv scope:SCOPE_SE
	v_add_nc_u16 v10, v0, 0x55
	v_and_b32_e32 v14, 0xff, v8
	v_add_co_u32 v6, s0, s4, v6
	s_wait_alu 0xf1ff
	v_add_co_ci_u32_e64 v7, s0, s5, v7, s0
	v_and_b32_e32 v15, 0xff, v9
	v_add_nc_u16 v11, v0, 0x66
	v_and_b32_e32 v16, 0xff, v10
	global_load_b64 v[12:13], v[6:7], off
	v_add_nc_u16 v6, v0, 0x77
	v_and_b32_e32 v7, 0xff, v4
	v_mul_lo_u16 v14, 0xf1, v14
	v_mul_lo_u16 v15, 0xf1, v15
	v_and_b32_e32 v17, 0xff, v11
	v_and_b32_e32 v18, 0xff, v6
	v_mul_lo_u16 v7, 0xf1, v7
	v_mul_lo_u16 v16, 0xf1, v16
	v_lshrrev_b16 v14, 12, v14
	v_lshrrev_b16 v15, 12, v15
	v_mul_lo_u16 v18, 0xf1, v18
	v_lshrrev_b16 v7, 12, v7
	v_mul_lo_u16 v17, 0xf1, v17
	;; [unrolled: 2-line block ×4, first 2 shown]
	v_mul_lo_u16 v15, v15, 17
	v_lshrrev_b16 v17, 12, v17
	v_mul_lo_u16 v16, v16, 17
	v_mul_lo_u16 v18, v18, 17
	v_sub_nc_u16 v4, v4, v7
	v_sub_nc_u16 v7, v8, v14
	v_sub_nc_u16 v8, v9, v15
	v_mul_lo_u16 v17, v17, 17
	v_sub_nc_u16 v9, v10, v16
	v_and_b32_e32 v46, 0xff, v4
	v_sub_nc_u16 v4, v6, v18
	v_and_b32_e32 v47, 0xff, v7
	v_and_b32_e32 v48, 0xff, v8
	v_sub_nc_u16 v10, v11, v17
	v_and_b32_e32 v49, 0xff, v9
	v_lshlrev_b32_e32 v6, 3, v46
	v_lshlrev_b32_e32 v7, 3, v47
	v_and_b32_e32 v51, 0xff, v4
	v_lshlrev_b32_e32 v4, 3, v48
	v_and_b32_e32 v50, 0xff, v10
	s_clause 0x1
	global_load_b64 v[14:15], v6, s[4:5]
	global_load_b64 v[16:17], v7, s[4:5]
	v_lshlrev_b32_e32 v46, 2, v46
	global_load_b64 v[18:19], v4, s[4:5]
	v_lshlrev_b32_e32 v6, 3, v49
	v_lshlrev_b32_e32 v7, 3, v50
	;; [unrolled: 1-line block ×3, first 2 shown]
	s_clause 0x2
	global_load_b64 v[20:21], v6, s[4:5]
	global_load_b64 v[22:23], v7, s[4:5]
	;; [unrolled: 1-line block ×3, first 2 shown]
	v_add_nc_u32_e32 v4, 0x200, v1
	ds_load_b32 v52, v37
	ds_load_2addr_b32 v[6:7], v1 offset0:119 offset1:136
	ds_load_2addr_b32 v[26:27], v1 offset0:17 offset1:34
	;; [unrolled: 1-line block ×10, first 2 shown]
	ds_load_b32 v54, v1 offset:1564
	ds_load_2addr_b32 v[44:45], v4 offset0:127 offset1:144
	v_lshlrev_b32_e32 v47, 2, v47
	v_lshlrev_b32_e32 v48, 2, v48
	;; [unrolled: 1-line block ×5, first 2 shown]
	v_add3_u32 v46, 0, v46, v38
	v_add3_u32 v47, 0, v47, v38
	;; [unrolled: 1-line block ×6, first 2 shown]
	s_wait_dscnt 0xb
	v_lshrrev_b32_e32 v56, 16, v7
	v_lshrrev_b32_e32 v55, 16, v52
	s_wait_dscnt 0x9
	v_lshrrev_b32_e32 v58, 16, v28
	s_wait_dscnt 0x8
	v_lshrrev_b32_e32 v59, 16, v30
	v_lshrrev_b32_e32 v57, 16, v26
	;; [unrolled: 1-line block ×4, first 2 shown]
	s_wait_dscnt 0x6
	v_lshrrev_b32_e32 v64, 16, v32
	s_wait_dscnt 0x0
	v_lshrrev_b32_e32 v77, 16, v45
	v_lshrrev_b32_e32 v65, 16, v34
	;; [unrolled: 1-line block ×16, first 2 shown]
	global_wb scope:SCOPE_SE
	s_wait_loadcnt 0x0
	s_barrier_signal -1
	s_barrier_wait -1
	global_inv scope:SCOPE_SE
	v_mul_u32_u24_e32 v53, 7, v0
	v_add_nc_u32_e32 v79, 0x200, v49
	v_add_nc_u32_e32 v81, 0x400, v50
	;; [unrolled: 1-line block ×3, first 2 shown]
	s_delay_alu instid0(VALU_DEP_4) | instskip(SKIP_2) | instid1(VALU_DEP_2)
	v_lshlrev_b32_e32 v53, 2, v53
	v_lshrrev_b32_e32 v51, 16, v12
	v_lshrrev_b32_e32 v80, 16, v13
	v_mul_f16_e32 v83, v56, v51
	v_mul_f16_e32 v84, v7, v51
	s_delay_alu instid0(VALU_DEP_3)
	v_mul_f16_e32 v85, v77, v80
	v_mul_f16_e32 v86, v45, v80
	;; [unrolled: 1-line block ×6, first 2 shown]
	v_fmac_f16_e32 v83, v7, v12
	v_fma_f16 v7, v56, v12, -v84
	v_fmac_f16_e32 v85, v45, v13
	v_fma_f16 v45, v77, v13, -v86
	;; [unrolled: 2-line block ×4, first 2 shown]
	v_add_f16_e32 v28, v52, v83
	v_add_f16_e32 v30, v83, v85
	v_sub_f16_e32 v51, v7, v45
	v_add_f16_e32 v56, v55, v7
	v_add_f16_e32 v7, v7, v45
	v_sub_f16_e32 v58, v83, v85
	v_add_f16_e32 v59, v26, v87
	v_sub_f16_e32 v80, v12, v13
	v_add_f16_e32 v83, v57, v12
	v_add_f16_e32 v12, v12, v13
	v_add_f16_e32 v77, v87, v88
	v_add_f16_e32 v28, v28, v85
	v_fmac_f16_e32 v52, -0.5, v30
	v_add_f16_e32 v30, v56, v45
	v_fmac_f16_e32 v55, -0.5, v7
	v_add_f16_e32 v7, v59, v88
	v_add_f16_e32 v13, v83, v13
	v_fmac_f16_e32 v57, -0.5, v12
	v_lshrrev_b32_e32 v12, 16, v14
	v_lshrrev_b32_e32 v45, 16, v15
	v_sub_f16_e32 v84, v87, v88
	v_fma_f16 v26, -0.5, v77, v26
	v_lshrrev_b32_e32 v56, 16, v16
	v_lshrrev_b32_e32 v59, 16, v17
	;; [unrolled: 1-line block ×10, first 2 shown]
	v_fmamk_f16 v91, v51, 0xbaee, v52
	v_fmac_f16_e32 v52, 0x3aee, v51
	v_fmamk_f16 v51, v58, 0x3aee, v55
	v_pack_b32_f16 v28, v28, v30
	v_pack_b32_f16 v7, v7, v13
	v_mul_f16_e32 v13, v61, v12
	v_mul_f16_e32 v12, v29, v12
	;; [unrolled: 1-line block ×4, first 2 shown]
	v_fmac_f16_e32 v55, 0xbaee, v58
	v_fmamk_f16 v58, v80, 0xbaee, v26
	v_fmac_f16_e32 v26, 0x3aee, v80
	v_fmamk_f16 v80, v84, 0x3aee, v57
	v_fmac_f16_e32 v57, 0xbaee, v84
	v_mul_f16_e32 v84, v64, v56
	v_mul_f16_e32 v56, v32, v56
	;; [unrolled: 1-line block ×20, first 2 shown]
	v_pack_b32_f16 v51, v91, v51
	v_fmac_f16_e32 v13, v29, v14
	v_fma_f16 v12, v61, v14, -v12
	v_fmac_f16_e32 v30, v31, v15
	v_fma_f16 v14, v62, v15, -v45
	v_pack_b32_f16 v52, v52, v55
	v_fmac_f16_e32 v84, v32, v16
	v_fma_f16 v15, v64, v16, -v56
	v_fmac_f16_e32 v92, v34, v17
	v_fma_f16 v16, v65, v17, -v59
	v_pack_b32_f16 v55, v58, v80
	v_pack_b32_f16 v26, v26, v57
	v_fmac_f16_e32 v93, v33, v18
	v_fma_f16 v17, v67, v18, -v77
	v_fmac_f16_e32 v94, v35, v19
	v_fma_f16 v18, v68, v19, -v83
	;; [unrolled: 2-line block ×8, first 2 shown]
	ds_store_2addr_b32 v1, v28, v51 offset1:17
	ds_store_2addr_b32 v1, v52, v7 offset0:34 offset1:51
	ds_store_2addr_b32 v1, v55, v26 offset0:68 offset1:85
	v_add_f16_e32 v25, v13, v30
	v_sub_f16_e32 v26, v12, v14
	v_add_f16_e32 v28, v60, v12
	v_add_f16_e32 v12, v12, v14
	v_add_f16_e32 v31, v84, v92
	v_sub_f16_e32 v32, v15, v16
	v_add_f16_e32 v33, v63, v15
	v_add_f16_e32 v15, v15, v16
	;; [unrolled: 4-line block ×6, first 2 shown]
	v_add_f16_e32 v7, v27, v13
	v_sub_f16_e32 v13, v13, v30
	v_add_f16_e32 v35, v9, v93
	v_fmac_f16_e32 v27, -0.5, v25
	v_fmac_f16_e32 v60, -0.5, v12
	v_add_f16_e32 v29, v8, v84
	v_sub_f16_e32 v34, v84, v92
	v_fma_f16 v8, -0.5, v31, v8
	v_fmac_f16_e32 v63, -0.5, v15
	v_sub_f16_e32 v43, v93, v94
	v_add_f16_e32 v44, v10, v95
	v_fmac_f16_e32 v9, -0.5, v40
	v_fmac_f16_e32 v66, -0.5, v17
	v_sub_f16_e32 v54, v95, v96
	v_add_f16_e32 v61, v6, v99
	v_fma_f16 v10, -0.5, v45, v10
	v_fmac_f16_e32 v69, -0.5, v19
	v_add_f16_e32 v55, v11, v97
	v_sub_f16_e32 v59, v97, v98
	v_sub_f16_e32 v67, v99, v100
	v_fmac_f16_e32 v11, -0.5, v56
	v_fmac_f16_e32 v72, -0.5, v21
	;; [unrolled: 1-line block ×4, first 2 shown]
	v_add_f16_e32 v7, v7, v30
	v_add_f16_e32 v14, v28, v14
	;; [unrolled: 1-line block ×4, first 2 shown]
	v_fmamk_f16 v23, v26, 0xbaee, v27
	v_fmamk_f16 v25, v13, 0x3aee, v60
	v_add_f16_e32 v12, v29, v92
	v_add_f16_e32 v16, v33, v16
	v_fmac_f16_e32 v27, 0x3aee, v26
	v_fmac_f16_e32 v60, 0xbaee, v13
	v_fmamk_f16 v13, v32, 0xbaee, v8
	v_fmamk_f16 v26, v34, 0x3aee, v63
	v_add_f16_e32 v17, v44, v96
	v_add_f16_e32 v20, v52, v20
	v_fmamk_f16 v28, v41, 0xbaee, v9
	v_fmamk_f16 v29, v43, 0x3aee, v66
	v_add_f16_e32 v21, v61, v100
	v_add_f16_e32 v24, v65, v24
	;; [unrolled: 4-line block ×3, first 2 shown]
	v_fmac_f16_e32 v8, 0x3aee, v32
	v_fmac_f16_e32 v63, 0xbaee, v34
	;; [unrolled: 1-line block ×6, first 2 shown]
	v_fmamk_f16 v32, v57, 0xbaee, v11
	v_fmac_f16_e32 v11, 0x3aee, v57
	v_fmamk_f16 v33, v59, 0x3aee, v72
	v_fmac_f16_e32 v72, 0xbaee, v59
	;; [unrolled: 2-line block ×4, first 2 shown]
	v_pack_b32_f16 v7, v7, v14
	v_pack_b32_f16 v14, v15, v18
	;; [unrolled: 1-line block ×18, first 2 shown]
	ds_store_2addr_b32 v46, v7, v18 offset0:102 offset1:119
	ds_store_2addr_b32 v47, v12, v13 offset0:153 offset1:170
	;; [unrolled: 1-line block ×6, first 2 shown]
	ds_store_b32 v46, v19 offset:544
	ds_store_b32 v47, v8 offset:748
	ds_store_b32 v48, v9 offset:952
	ds_store_b32 v49, v10 offset:1156
	ds_store_b32 v50, v11 offset:1360
	ds_store_b32 v38, v6 offset:1564
	global_wb scope:SCOPE_SE
	s_wait_dscnt 0x0
	s_barrier_signal -1
	s_barrier_wait -1
	global_inv scope:SCOPE_SE
	s_clause 0x5
	global_load_b128 v[6:9], v53, s[4:5] offset:136
	global_load_b96 v[18:20], v53, s[4:5] offset:152
	global_load_b128 v[10:13], v53, s[4:5] offset:612
	global_load_b96 v[21:23], v53, s[4:5] offset:628
	;; [unrolled: 2-line block ×3, first 2 shown]
	ds_load_2addr_b32 v[27:28], v4 offset0:127 offset1:144
	ds_load_2addr_b32 v[29:30], v39 offset0:33 offset1:50
	;; [unrolled: 1-line block ×11, first 2 shown]
	ds_load_b32 v4, v37
	ds_load_u16 v35, v1 offset:818
	ds_load_b32 v37, v1 offset:1564
	global_wb scope:SCOPE_SE
	s_wait_loadcnt_dscnt 0x0
	s_barrier_signal -1
	s_barrier_wait -1
	global_inv scope:SCOPE_SE
	v_lshrrev_b32_e32 v38, 16, v27
	v_lshrrev_b32_e32 v54, 16, v30
	v_lshrrev_b32_e32 v55, 16, v31
	v_lshrrev_b32_e32 v56, 16, v34
	v_lshrrev_b32_e32 v57, 16, v40
	v_lshrrev_b32_e32 v58, 16, v43
	v_lshrrev_b32_e32 v59, 16, v44
	v_lshrrev_b32_e32 v60, 16, v28
	v_lshrrev_b32_e32 v61, 16, v46
	v_lshrrev_b32_e32 v62, 16, v32
	v_lshrrev_b32_e32 v71, 16, v33
	v_lshrrev_b32_e32 v72, 16, v51
	v_lshrrev_b32_e32 v73, 16, v42
	v_lshrrev_b32_e32 v64, 16, v50
	v_lshrrev_b32_e32 v65, 16, v41
	v_lshrrev_b32_e32 v66, 16, v52
	v_lshrrev_b32_e32 v67, 16, v45
	v_lshrrev_b32_e32 v68, 16, v29
	v_lshrrev_b32_e32 v69, 16, v47
	v_lshrrev_b32_e32 v70, 16, v37
	v_lshrrev_b32_e32 v74, 16, v4
	v_lshrrev_b32_e32 v75, 16, v48
	v_lshrrev_b32_e32 v63, 16, v49
	v_lshrrev_b32_e32 v76, 16, v6
	v_lshrrev_b32_e32 v77, 16, v7
	v_lshrrev_b32_e32 v78, 16, v8
	v_lshrrev_b32_e32 v79, 16, v9
	v_lshrrev_b32_e32 v80, 16, v18
	v_lshrrev_b32_e32 v81, 16, v19
	v_lshrrev_b32_e32 v82, 16, v20
	v_lshrrev_b32_e32 v83, 16, v10
	v_lshrrev_b32_e32 v84, 16, v11
	v_lshrrev_b32_e32 v85, 16, v12
	v_lshrrev_b32_e32 v86, 16, v13
	v_lshrrev_b32_e32 v87, 16, v21
	v_lshrrev_b32_e32 v88, 16, v22
	v_lshrrev_b32_e32 v89, 16, v23
	v_lshrrev_b32_e32 v90, 16, v14
	v_lshrrev_b32_e32 v91, 16, v15
	v_lshrrev_b32_e32 v92, 16, v16
	v_lshrrev_b32_e32 v93, 16, v17
	v_lshrrev_b32_e32 v94, 16, v24
	v_lshrrev_b32_e32 v95, 16, v25
	v_lshrrev_b32_e32 v96, 16, v26
	v_mul_f16_e32 v97, v76, v71
	v_mul_f16_e32 v76, v76, v33
	;; [unrolled: 1-line block ×42, first 2 shown]
	v_fmac_f16_e32 v97, v6, v33
	v_fma_f16 v6, v6, v71, -v76
	v_fmac_f16_e32 v98, v7, v51
	v_fma_f16 v7, v7, v72, -v77
	v_fmac_f16_e32 v99, v8, v42
	v_fma_f16 v8, v8, v73, -v78
	v_fmac_f16_e32 v100, v9, v53
	v_fma_f16 v9, v35, v9, -v79
	v_fmac_f16_e32 v101, v27, v18
	v_fma_f16 v18, v38, v18, -v80
	v_fmac_f16_e32 v102, v30, v19
	v_fma_f16 v19, v54, v19, -v81
	v_fmac_f16_e32 v103, v31, v20
	v_fma_f16 v20, v55, v20, -v82
	v_fmac_f16_e32 v104, v34, v10
	v_fma_f16 v10, v56, v10, -v83
	v_fmac_f16_e32 v105, v40, v11
	v_fma_f16 v11, v57, v11, -v84
	v_fmac_f16_e32 v106, v43, v12
	v_fma_f16 v12, v58, v12, -v85
	v_fmac_f16_e32 v107, v44, v13
	v_fma_f16 v13, v59, v13, -v86
	v_fmac_f16_e32 v108, v28, v21
	v_fma_f16 v21, v60, v21, -v87
	v_fmac_f16_e32 v109, v46, v22
	v_fma_f16 v22, v61, v22, -v88
	v_fmac_f16_e32 v110, v32, v23
	v_fma_f16 v23, v62, v23, -v89
	v_fmac_f16_e32 v111, v50, v14
	v_fma_f16 v14, v64, v14, -v90
	v_fmac_f16_e32 v112, v41, v15
	v_fma_f16 v15, v65, v15, -v91
	v_fmac_f16_e32 v113, v52, v16
	v_fma_f16 v16, v66, v16, -v92
	v_fmac_f16_e32 v114, v45, v17
	v_fma_f16 v17, v67, v17, -v93
	v_fmac_f16_e32 v115, v29, v24
	v_fma_f16 v24, v68, v24, -v94
	v_fmac_f16_e32 v116, v47, v25
	v_fma_f16 v25, v69, v25, -v95
	v_fmac_f16_e32 v117, v37, v26
	v_fma_f16 v26, v70, v26, -v96
	v_sub_f16_e32 v27, v4, v100
	v_sub_f16_e32 v9, v74, v9
	;; [unrolled: 1-line block ×24, first 2 shown]
	v_fma_f16 v4, v4, 2.0, -v27
	v_fma_f16 v41, v74, 2.0, -v9
	v_fma_f16 v42, v98, 2.0, -v28
	v_fma_f16 v7, v7, 2.0, -v19
	v_fma_f16 v43, v97, 2.0, -v29
	v_fma_f16 v6, v6, 2.0, -v18
	v_fma_f16 v44, v99, 2.0, -v30
	v_fma_f16 v8, v8, 2.0, -v20
	v_add_f16_e32 v19, v27, v19
	v_sub_f16_e32 v28, v9, v28
	v_add_f16_e32 v20, v29, v20
	v_sub_f16_e32 v30, v18, v30
	v_fma_f16 v45, v48, 2.0, -v31
	v_fma_f16 v46, v75, 2.0, -v13
	v_fma_f16 v47, v105, 2.0, -v32
	v_fma_f16 v11, v11, 2.0, -v22
	v_fma_f16 v48, v104, 2.0, -v33
	v_fma_f16 v10, v10, 2.0, -v21
	v_fma_f16 v50, v106, 2.0, -v34
	v_fma_f16 v12, v12, 2.0, -v23
	v_add_f16_e32 v22, v31, v22
	v_sub_f16_e32 v32, v13, v32
	v_add_f16_e32 v23, v33, v23
	v_sub_f16_e32 v34, v21, v34
	;; [unrolled: 12-line block ×3, first 2 shown]
	v_sub_f16_e32 v42, v4, v42
	v_sub_f16_e32 v7, v41, v7
	v_fma_f16 v9, v9, 2.0, -v28
	v_sub_f16_e32 v44, v43, v44
	v_sub_f16_e32 v8, v6, v8
	v_fma_f16 v18, v18, 2.0, -v30
	v_fmamk_f16 v55, v20, 0x39a8, v19
	v_fmamk_f16 v56, v30, 0x39a8, v28
	v_sub_f16_e32 v47, v45, v47
	v_sub_f16_e32 v11, v46, v11
	;; [unrolled: 1-line block ×4, first 2 shown]
	v_fma_f16 v27, v27, 2.0, -v19
	v_fma_f16 v29, v29, 2.0, -v20
	;; [unrolled: 1-line block ×6, first 2 shown]
	v_fmamk_f16 v57, v23, 0x39a8, v22
	v_fmamk_f16 v58, v34, 0x39a8, v32
	v_sub_f16_e32 v52, v49, v52
	v_sub_f16_e32 v15, v51, v15
	v_fma_f16 v35, v35, 2.0, -v25
	v_fma_f16 v17, v17, 2.0, -v37
	v_sub_f16_e32 v54, v53, v54
	v_sub_f16_e32 v16, v14, v16
	v_fma_f16 v38, v38, 2.0, -v26
	v_fma_f16 v24, v24, 2.0, -v40
	v_fmamk_f16 v59, v26, 0x39a8, v25
	v_fmamk_f16 v60, v40, 0x39a8, v37
	v_fma_f16 v4, v4, 2.0, -v42
	v_fma_f16 v41, v41, 2.0, -v7
	;; [unrolled: 1-line block ×4, first 2 shown]
	v_fmamk_f16 v62, v18, 0xb9a8, v9
	v_fmac_f16_e32 v55, 0x39a8, v30
	v_fmac_f16_e32 v56, 0xb9a8, v20
	v_fma_f16 v20, v45, 2.0, -v47
	v_fma_f16 v30, v46, 2.0, -v11
	v_fma_f16 v45, v48, 2.0, -v50
	v_fma_f16 v10, v10, 2.0, -v12
	v_fmamk_f16 v61, v29, 0xb9a8, v27
	v_add_f16_e32 v8, v42, v8
	v_sub_f16_e32 v44, v7, v44
	v_fmamk_f16 v46, v33, 0xb9a8, v31
	v_fmamk_f16 v48, v21, 0xb9a8, v13
	v_add_f16_e32 v12, v47, v12
	v_sub_f16_e32 v50, v11, v50
	v_fmac_f16_e32 v57, 0x39a8, v34
	v_fmac_f16_e32 v58, 0xb9a8, v23
	v_fma_f16 v23, v49, 2.0, -v52
	v_fma_f16 v34, v51, 2.0, -v15
	;; [unrolled: 1-line block ×4, first 2 shown]
	v_fmamk_f16 v51, v38, 0xb9a8, v35
	v_fmamk_f16 v53, v24, 0xb9a8, v17
	v_add_f16_e32 v16, v52, v16
	v_sub_f16_e32 v54, v15, v54
	v_fmac_f16_e32 v59, 0x39a8, v40
	v_fmac_f16_e32 v60, 0xb9a8, v26
	v_sub_f16_e32 v26, v4, v43
	v_sub_f16_e32 v6, v41, v6
	v_fmac_f16_e32 v62, 0xb9a8, v29
	v_sub_f16_e32 v29, v20, v45
	v_sub_f16_e32 v10, v30, v10
	v_fmac_f16_e32 v61, 0x39a8, v18
	v_fma_f16 v18, v42, 2.0, -v8
	v_fma_f16 v7, v7, 2.0, -v44
	;; [unrolled: 1-line block ×4, first 2 shown]
	v_fmac_f16_e32 v46, 0x39a8, v21
	v_fmac_f16_e32 v48, 0xb9a8, v33
	v_fma_f16 v21, v47, 2.0, -v12
	v_fma_f16 v11, v11, 2.0, -v50
	v_sub_f16_e32 v33, v23, v49
	v_sub_f16_e32 v14, v34, v14
	v_fmac_f16_e32 v51, 0x39a8, v24
	v_fmac_f16_e32 v53, 0xb9a8, v38
	v_fma_f16 v24, v52, 2.0, -v16
	v_fma_f16 v15, v15, 2.0, -v54
	v_pack_b32_f16 v8, v8, v44
	v_pack_b32_f16 v12, v12, v50
	v_fma_f16 v22, v22, 2.0, -v57
	v_fma_f16 v32, v32, 2.0, -v58
	v_fma_f16 v25, v25, 2.0, -v59
	v_fma_f16 v37, v37, 2.0, -v60
	v_pack_b32_f16 v38, v55, v56
	v_pack_b32_f16 v16, v16, v54
	v_fma_f16 v4, v4, 2.0, -v26
	v_fma_f16 v41, v41, 2.0, -v6
	;; [unrolled: 6-line block ×3, first 2 shown]
	v_fma_f16 v31, v31, 2.0, -v46
	v_fma_f16 v13, v13, 2.0, -v48
	;; [unrolled: 1-line block ×6, first 2 shown]
	v_pack_b32_f16 v7, v18, v7
	v_pack_b32_f16 v18, v19, v28
	;; [unrolled: 1-line block ×3, first 2 shown]
	ds_store_2addr_b32 v39, v8, v12 offset0:50 offset1:67
	v_pack_b32_f16 v8, v24, v15
	v_pack_b32_f16 v6, v26, v6
	;; [unrolled: 1-line block ×9, first 2 shown]
	ds_store_2addr_b32 v39, v16, v38 offset0:84 offset1:101
	ds_store_2addr_b32 v39, v40, v42 offset0:118 offset1:135
	v_pack_b32_f16 v4, v4, v41
	v_pack_b32_f16 v16, v20, v30
	;; [unrolled: 1-line block ×4, first 2 shown]
	ds_store_2addr_b32 v1, v7, v11 offset0:102 offset1:119
	ds_store_2addr_b32 v1, v6, v10 offset0:204 offset1:221
	v_pack_b32_f16 v6, v23, v34
	v_pack_b32_f16 v7, v35, v17
	ds_store_2addr_b32 v1, v8, v18 offset0:136 offset1:153
	ds_store_2addr_b32 v1, v21, v12 offset0:170 offset1:187
	;; [unrolled: 1-line block ×4, first 2 shown]
	ds_store_2addr_b32 v1, v4, v16 offset1:17
	ds_store_2addr_b32 v1, v6, v9 offset0:34 offset1:51
	ds_store_2addr_b32 v1, v13, v7 offset0:68 offset1:85
	global_wb scope:SCOPE_SE
	s_wait_dscnt 0x0
	s_barrier_signal -1
	s_barrier_wait -1
	global_inv scope:SCOPE_SE
	s_and_saveexec_b32 s0, vcc_lo
	s_cbranch_execz .LBB0_20
; %bb.19:
	v_dual_mov_b32 v1, v5 :: v_dual_add_nc_u32 v4, 17, v0
	v_add_co_u32 v31, vcc_lo, s8, v2
	s_wait_alu 0xfffd
	v_add_co_ci_u32_e32 v32, vcc_lo, s9, v3, vcc_lo
	s_delay_alu instid0(VALU_DEP_3) | instskip(SKIP_3) | instid1(VALU_DEP_4)
	v_lshlrev_b64_e32 v[8:9], 2, v[0:1]
	v_lshlrev_b64_e32 v[1:2], 2, v[4:5]
	v_add_nc_u32_e32 v4, 34, v0
	v_lshl_add_u32 v30, v0, 2, v36
	v_add_co_u32 v8, vcc_lo, v31, v8
	s_delay_alu instid0(VALU_DEP_3)
	v_lshlrev_b64_e32 v[10:11], 2, v[4:5]
	v_add_nc_u32_e32 v4, 51, v0
	s_wait_alu 0xfffd
	v_add_co_ci_u32_e32 v9, vcc_lo, v32, v9, vcc_lo
	ds_load_2addr_b32 v[6:7], v30 offset1:17
	v_add_co_u32 v1, vcc_lo, v31, v1
	v_lshlrev_b64_e32 v[14:15], 2, v[4:5]
	v_add_nc_u32_e32 v4, 0x44, v0
	s_wait_alu 0xfffd
	v_add_co_ci_u32_e32 v2, vcc_lo, v32, v2, vcc_lo
	ds_load_2addr_b32 v[12:13], v30 offset0:34 offset1:51
	v_add_co_u32 v10, vcc_lo, v31, v10
	v_lshlrev_b64_e32 v[16:17], 2, v[4:5]
	v_add_nc_u32_e32 v4, 0x55, v0
	ds_load_2addr_b32 v[18:19], v30 offset0:68 offset1:85
	s_wait_alu 0xfffd
	v_add_co_ci_u32_e32 v11, vcc_lo, v32, v11, vcc_lo
	v_add_co_u32 v14, vcc_lo, v31, v14
	v_lshlrev_b64_e32 v[20:21], 2, v[4:5]
	v_add_nc_u32_e32 v4, 0x66, v0
	ds_load_2addr_b32 v[22:23], v30 offset0:102 offset1:119
	s_wait_alu 0xfffd
	v_add_co_ci_u32_e32 v15, vcc_lo, v32, v15, vcc_lo
	v_add_co_u32 v16, vcc_lo, v31, v16
	v_lshlrev_b64_e32 v[24:25], 2, v[4:5]
	v_add_nc_u32_e32 v4, 0x77, v0
	s_wait_alu 0xfffd
	v_add_co_ci_u32_e32 v17, vcc_lo, v32, v17, vcc_lo
	v_add_co_u32 v20, vcc_lo, v31, v20
	s_delay_alu instid0(VALU_DEP_3) | instskip(SKIP_4) | instid1(VALU_DEP_3)
	v_lshlrev_b64_e32 v[26:27], 2, v[4:5]
	v_add_nc_u32_e32 v4, 0x88, v0
	s_wait_alu 0xfffd
	v_add_co_ci_u32_e32 v21, vcc_lo, v32, v21, vcc_lo
	v_add_co_u32 v24, vcc_lo, v31, v24
	v_lshlrev_b64_e32 v[28:29], 2, v[4:5]
	v_add_nc_u32_e32 v4, 0x99, v0
	s_wait_alu 0xfffd
	v_add_co_ci_u32_e32 v25, vcc_lo, v32, v25, vcc_lo
	v_add_co_u32 v26, vcc_lo, v31, v26
	s_wait_alu 0xfffd
	v_add_co_ci_u32_e32 v27, vcc_lo, v32, v27, vcc_lo
	s_wait_dscnt 0x3
	s_clause 0x1
	global_store_b32 v[8:9], v6, off
	global_store_b32 v[1:2], v7, off
	s_wait_dscnt 0x2
	s_clause 0x1
	global_store_b32 v[10:11], v12, off
	global_store_b32 v[14:15], v13, off
	;; [unrolled: 4-line block ×4, first 2 shown]
	v_lshlrev_b64_e32 v[6:7], 2, v[4:5]
	v_add_nc_u32_e32 v4, 0xaa, v0
	v_add_co_u32 v8, vcc_lo, v31, v28
	s_wait_alu 0xfffd
	v_add_co_ci_u32_e32 v9, vcc_lo, v32, v29, vcc_lo
	s_delay_alu instid0(VALU_DEP_3)
	v_lshlrev_b64_e32 v[10:11], 2, v[4:5]
	v_add_nc_u32_e32 v4, 0xbb, v0
	ds_load_2addr_b32 v[1:2], v30 offset0:136 offset1:153
	v_add_co_u32 v6, vcc_lo, v31, v6
	s_wait_alu 0xfffd
	v_add_co_ci_u32_e32 v7, vcc_lo, v32, v7, vcc_lo
	v_lshlrev_b64_e32 v[14:15], 2, v[4:5]
	v_add_nc_u32_e32 v4, 0xcc, v0
	ds_load_2addr_b32 v[12:13], v30 offset0:170 offset1:187
	v_add_co_u32 v10, vcc_lo, v31, v10
	ds_load_2addr_b32 v[18:19], v30 offset0:204 offset1:221
	v_lshlrev_b64_e32 v[16:17], 2, v[4:5]
	v_add_nc_u32_e32 v4, 0xdd, v0
	s_wait_alu 0xfffd
	v_add_co_ci_u32_e32 v11, vcc_lo, v32, v11, vcc_lo
	v_add_co_u32 v14, vcc_lo, v31, v14
	s_delay_alu instid0(VALU_DEP_3)
	v_lshlrev_b64_e32 v[20:21], 2, v[4:5]
	v_add_nc_u32_e32 v4, 0xee, v0
	ds_load_2addr_b32 v[24:25], v30 offset0:238 offset1:255
	s_wait_alu 0xfffd
	v_add_co_ci_u32_e32 v15, vcc_lo, v32, v15, vcc_lo
	v_add_co_u32 v16, vcc_lo, v31, v16
	v_lshlrev_b64_e32 v[22:23], 2, v[4:5]
	v_add_nc_u32_e32 v4, 0xff, v0
	s_wait_alu 0xfffd
	v_add_co_ci_u32_e32 v17, vcc_lo, v32, v17, vcc_lo
	v_add_co_u32 v20, vcc_lo, v31, v20
	s_delay_alu instid0(VALU_DEP_3) | instskip(SKIP_4) | instid1(VALU_DEP_3)
	v_lshlrev_b64_e32 v[26:27], 2, v[4:5]
	v_add_nc_u32_e32 v4, 0x110, v0
	s_wait_alu 0xfffd
	v_add_co_ci_u32_e32 v21, vcc_lo, v32, v21, vcc_lo
	v_add_co_u32 v22, vcc_lo, v31, v22
	v_lshlrev_b64_e32 v[28:29], 2, v[4:5]
	v_add_nc_u32_e32 v4, 0x121, v0
	s_wait_alu 0xfffd
	v_add_co_ci_u32_e32 v23, vcc_lo, v32, v23, vcc_lo
	v_add_co_u32 v26, vcc_lo, v31, v26
	s_wait_alu 0xfffd
	v_add_co_ci_u32_e32 v27, vcc_lo, v32, v27, vcc_lo
	s_wait_dscnt 0x3
	s_clause 0x1
	global_store_b32 v[8:9], v1, off
	global_store_b32 v[6:7], v2, off
	s_wait_dscnt 0x2
	s_clause 0x1
	global_store_b32 v[10:11], v12, off
	global_store_b32 v[14:15], v13, off
	s_wait_dscnt 0x1
	s_clause 0x1
	global_store_b32 v[16:17], v18, off
	global_store_b32 v[20:21], v19, off
	s_wait_dscnt 0x0
	s_clause 0x1
	global_store_b32 v[22:23], v24, off
	global_store_b32 v[26:27], v25, off
	v_lshlrev_b64_e32 v[6:7], 2, v[4:5]
	v_add_nc_u32_e32 v4, 0x132, v0
	v_add_nc_u32_e32 v3, 0x400, v30
	v_add_co_u32 v8, vcc_lo, v31, v28
	s_wait_alu 0xfffd
	v_add_co_ci_u32_e32 v9, vcc_lo, v32, v29, vcc_lo
	v_lshlrev_b64_e32 v[10:11], 2, v[4:5]
	v_add_nc_u32_e32 v4, 0x143, v0
	ds_load_2addr_b32 v[1:2], v3 offset0:16 offset1:33
	v_add_co_u32 v6, vcc_lo, v31, v6
	s_wait_alu 0xfffd
	v_add_co_ci_u32_e32 v7, vcc_lo, v32, v7, vcc_lo
	v_lshlrev_b64_e32 v[14:15], 2, v[4:5]
	v_add_nc_u32_e32 v4, 0x154, v0
	ds_load_2addr_b32 v[12:13], v3 offset0:50 offset1:67
	v_add_co_u32 v10, vcc_lo, v31, v10
	ds_load_2addr_b32 v[18:19], v3 offset0:84 offset1:101
	v_lshlrev_b64_e32 v[16:17], 2, v[4:5]
	v_add_nc_u32_e32 v4, 0x165, v0
	s_wait_alu 0xfffd
	v_add_co_ci_u32_e32 v11, vcc_lo, v32, v11, vcc_lo
	v_add_co_u32 v14, vcc_lo, v31, v14
	s_delay_alu instid0(VALU_DEP_3)
	v_lshlrev_b64_e32 v[20:21], 2, v[4:5]
	v_add_nc_u32_e32 v4, 0x176, v0
	ds_load_2addr_b32 v[22:23], v3 offset0:118 offset1:135
	s_wait_alu 0xfffd
	v_add_co_ci_u32_e32 v15, vcc_lo, v32, v15, vcc_lo
	v_add_co_u32 v16, vcc_lo, v31, v16
	v_lshlrev_b64_e32 v[24:25], 2, v[4:5]
	v_add_nc_u32_e32 v4, 0x187, v0
	s_wait_alu 0xfffd
	v_add_co_ci_u32_e32 v17, vcc_lo, v32, v17, vcc_lo
	v_add_co_u32 v20, vcc_lo, v31, v20
	s_delay_alu instid0(VALU_DEP_3)
	v_lshlrev_b64_e32 v[3:4], 2, v[4:5]
	s_wait_alu 0xfffd
	v_add_co_ci_u32_e32 v21, vcc_lo, v32, v21, vcc_lo
	v_add_co_u32 v24, vcc_lo, v31, v24
	s_wait_alu 0xfffd
	v_add_co_ci_u32_e32 v25, vcc_lo, v32, v25, vcc_lo
	v_add_co_u32 v3, vcc_lo, v31, v3
	s_wait_alu 0xfffd
	v_add_co_ci_u32_e32 v4, vcc_lo, v32, v4, vcc_lo
	s_wait_dscnt 0x3
	s_clause 0x1
	global_store_b32 v[8:9], v1, off
	global_store_b32 v[6:7], v2, off
	s_wait_dscnt 0x2
	s_clause 0x1
	global_store_b32 v[10:11], v12, off
	global_store_b32 v[14:15], v13, off
	;; [unrolled: 4-line block ×4, first 2 shown]
.LBB0_20:
	s_nop 0
	s_sendmsg sendmsg(MSG_DEALLOC_VGPRS)
	s_endpgm
	.section	.rodata,"a",@progbits
	.p2align	6, 0x0
	.amdhsa_kernel fft_rtc_back_len408_factors_17_3_8_wgs_51_tpt_17_halfLds_half_ip_CI_unitstride_sbrr_C2R_dirReg
		.amdhsa_group_segment_fixed_size 0
		.amdhsa_private_segment_fixed_size 0
		.amdhsa_kernarg_size 88
		.amdhsa_user_sgpr_count 2
		.amdhsa_user_sgpr_dispatch_ptr 0
		.amdhsa_user_sgpr_queue_ptr 0
		.amdhsa_user_sgpr_kernarg_segment_ptr 1
		.amdhsa_user_sgpr_dispatch_id 0
		.amdhsa_user_sgpr_private_segment_size 0
		.amdhsa_wavefront_size32 1
		.amdhsa_uses_dynamic_stack 0
		.amdhsa_enable_private_segment 0
		.amdhsa_system_sgpr_workgroup_id_x 1
		.amdhsa_system_sgpr_workgroup_id_y 0
		.amdhsa_system_sgpr_workgroup_id_z 0
		.amdhsa_system_sgpr_workgroup_info 0
		.amdhsa_system_vgpr_workitem_id 0
		.amdhsa_next_free_vgpr 213
		.amdhsa_next_free_sgpr 32
		.amdhsa_reserve_vcc 1
		.amdhsa_float_round_mode_32 0
		.amdhsa_float_round_mode_16_64 0
		.amdhsa_float_denorm_mode_32 3
		.amdhsa_float_denorm_mode_16_64 3
		.amdhsa_fp16_overflow 0
		.amdhsa_workgroup_processor_mode 1
		.amdhsa_memory_ordered 1
		.amdhsa_forward_progress 0
		.amdhsa_round_robin_scheduling 0
		.amdhsa_exception_fp_ieee_invalid_op 0
		.amdhsa_exception_fp_denorm_src 0
		.amdhsa_exception_fp_ieee_div_zero 0
		.amdhsa_exception_fp_ieee_overflow 0
		.amdhsa_exception_fp_ieee_underflow 0
		.amdhsa_exception_fp_ieee_inexact 0
		.amdhsa_exception_int_div_zero 0
	.end_amdhsa_kernel
	.text
.Lfunc_end0:
	.size	fft_rtc_back_len408_factors_17_3_8_wgs_51_tpt_17_halfLds_half_ip_CI_unitstride_sbrr_C2R_dirReg, .Lfunc_end0-fft_rtc_back_len408_factors_17_3_8_wgs_51_tpt_17_halfLds_half_ip_CI_unitstride_sbrr_C2R_dirReg
                                        ; -- End function
	.section	.AMDGPU.csdata,"",@progbits
; Kernel info:
; codeLenInByte = 21196
; NumSgprs: 34
; NumVgprs: 213
; ScratchSize: 0
; MemoryBound: 0
; FloatMode: 240
; IeeeMode: 1
; LDSByteSize: 0 bytes/workgroup (compile time only)
; SGPRBlocks: 4
; VGPRBlocks: 26
; NumSGPRsForWavesPerEU: 34
; NumVGPRsForWavesPerEU: 213
; Occupancy: 7
; WaveLimiterHint : 1
; COMPUTE_PGM_RSRC2:SCRATCH_EN: 0
; COMPUTE_PGM_RSRC2:USER_SGPR: 2
; COMPUTE_PGM_RSRC2:TRAP_HANDLER: 0
; COMPUTE_PGM_RSRC2:TGID_X_EN: 1
; COMPUTE_PGM_RSRC2:TGID_Y_EN: 0
; COMPUTE_PGM_RSRC2:TGID_Z_EN: 0
; COMPUTE_PGM_RSRC2:TIDIG_COMP_CNT: 0
	.text
	.p2alignl 7, 3214868480
	.fill 96, 4, 3214868480
	.type	__hip_cuid_cc78fc543c8e5b95,@object ; @__hip_cuid_cc78fc543c8e5b95
	.section	.bss,"aw",@nobits
	.globl	__hip_cuid_cc78fc543c8e5b95
__hip_cuid_cc78fc543c8e5b95:
	.byte	0                               ; 0x0
	.size	__hip_cuid_cc78fc543c8e5b95, 1

	.ident	"AMD clang version 19.0.0git (https://github.com/RadeonOpenCompute/llvm-project roc-6.4.0 25133 c7fe45cf4b819c5991fe208aaa96edf142730f1d)"
	.section	".note.GNU-stack","",@progbits
	.addrsig
	.addrsig_sym __hip_cuid_cc78fc543c8e5b95
	.amdgpu_metadata
---
amdhsa.kernels:
  - .args:
      - .actual_access:  read_only
        .address_space:  global
        .offset:         0
        .size:           8
        .value_kind:     global_buffer
      - .offset:         8
        .size:           8
        .value_kind:     by_value
      - .actual_access:  read_only
        .address_space:  global
        .offset:         16
        .size:           8
        .value_kind:     global_buffer
      - .actual_access:  read_only
        .address_space:  global
        .offset:         24
        .size:           8
        .value_kind:     global_buffer
      - .offset:         32
        .size:           8
        .value_kind:     by_value
      - .actual_access:  read_only
        .address_space:  global
        .offset:         40
        .size:           8
        .value_kind:     global_buffer
      - .actual_access:  read_only
        .address_space:  global
        .offset:         48
        .size:           8
        .value_kind:     global_buffer
      - .offset:         56
        .size:           4
        .value_kind:     by_value
      - .actual_access:  read_only
        .address_space:  global
        .offset:         64
        .size:           8
        .value_kind:     global_buffer
      - .actual_access:  read_only
        .address_space:  global
        .offset:         72
        .size:           8
        .value_kind:     global_buffer
      - .address_space:  global
        .offset:         80
        .size:           8
        .value_kind:     global_buffer
    .group_segment_fixed_size: 0
    .kernarg_segment_align: 8
    .kernarg_segment_size: 88
    .language:       OpenCL C
    .language_version:
      - 2
      - 0
    .max_flat_workgroup_size: 51
    .name:           fft_rtc_back_len408_factors_17_3_8_wgs_51_tpt_17_halfLds_half_ip_CI_unitstride_sbrr_C2R_dirReg
    .private_segment_fixed_size: 0
    .sgpr_count:     34
    .sgpr_spill_count: 0
    .symbol:         fft_rtc_back_len408_factors_17_3_8_wgs_51_tpt_17_halfLds_half_ip_CI_unitstride_sbrr_C2R_dirReg.kd
    .uniform_work_group_size: 1
    .uses_dynamic_stack: false
    .vgpr_count:     213
    .vgpr_spill_count: 0
    .wavefront_size: 32
    .workgroup_processor_mode: 1
amdhsa.target:   amdgcn-amd-amdhsa--gfx1201
amdhsa.version:
  - 1
  - 2
...

	.end_amdgpu_metadata
